;; amdgpu-corpus repo=ROCm/aiter kind=harvested arch=n/a opt=n/a

/root/src/amdgpu-assembly/repos/ROCm__aiter/hsa/gfx950/f4gemm/f4gemm_bf16_per1x32Fp4_BpreShuffle_32x1024.co:	file format elf64-amdgpu

Disassembly of section .text:

0000000000002c00 <_ZN5aiter42f4gemm_bf16_per1x32Fp4_BpreShuffle_32x1024E>:
	s_and_b32 s1, s1, 0xffff                                   // 000000002C00: 8601FF01 0000FFFF
	s_load_dwordx2 s[4:5], s[0:1], 0x0                         // 000000002C08: C0060100 00000000
	s_load_dwordx2 s[8:9], s[0:1], 0x10                        // 000000002C10: C0060200 00000010
	s_load_dwordx2 s[12:13], s[0:1], 0x20                      // 000000002C18: C0060300 00000020
	s_load_dwordx2 s[16:17], s[0:1], 0x30                      // 000000002C20: C0060400 00000030
	s_load_dword s41, s[0:1], 0x40                             // 000000002C28: C0020A40 00000040
	s_load_dword s42, s[0:1], 0x50                             // 000000002C30: C0020A80 00000050
	s_load_dword s36, s[0:1], 0x80                             // 000000002C38: C0020900 00000080
	s_load_dword s37, s[0:1], 0xa0                             // 000000002C40: C0020940 000000A0
	s_load_dword s38, s[0:1], 0xc0                             // 000000002C48: C0020980 000000C0
	s_load_dword s43, s[0:1], 0xe0                             // 000000002C50: C0020AC0 000000E0
	s_load_dword s44, s[0:1], 0xf0                             // 000000002C58: C0020B00 000000F0
	s_load_dword s45, s[0:1], 0x100                            // 000000002C60: C0020B40 00000100
	s_load_dwordx2 s[20:21], s[0:1], 0x110                     // 000000002C68: C0060500 00000110
	s_load_dwordx2 s[24:25], s[0:1], 0x120                     // 000000002C70: C0060600 00000120
	s_load_dword s39, s[0:1], 0x130                            // 000000002C78: C00209C0 00000130
	s_load_dword s40, s[0:1], 0x150                            // 000000002C80: C0020A00 00000150
	v_lshrrev_b32_e32 v1, 10, v0                               // 000000002C88: 2002008A
	v_lshrrev_b32_e32 v2, 10, v1                               // 000000002C8C: 2004028A
	v_and_b32_e32 v2, 0x3ff, v2                                // 000000002C90: 260404FF 000003FF
	v_and_b32_e32 v1, 0x3ff, v1                                // 000000002C98: 260202FF 000003FF
	v_and_b32_e32 v0, 0x3ff, v0                                // 000000002CA0: 260000FF 000003FF
	v_lshrrev_b32_e32 v3, 6, v0                                // 000000002CA8: 20060086
	v_and_b32_e32 v0, 63, v0                                   // 000000002CAC: 260000BF
	s_mov_b32 s47, s2                                          // 000000002CB0: BEAF0002
	s_mov_b32 s48, s3                                          // 000000002CB4: BEB00003
	v_readfirstlane_b32 s46, v3                                // 000000002CB8: 7E5C0503
	s_waitcnt lgkmcnt(0)                                       // 000000002CBC: BF8CC07F
	s_add_u32 s51, s44, 0x3ff                                  // 000000002CC0: 8033FF2C 000003FF
	s_lshr_b32 s50, s51, 10                                    // 000000002CC8: 8F328A33
	s_mul_i32 s49, s50, s48                                    // 000000002CCC: 92313032
	s_add_i32 s49, s49, s47                                    // 000000002CD0: 81312F31
	s_add_u32 s51, s43, 31                                     // 000000002CD4: 80339F2B
	s_lshr_b32 s62, s51, 5                                     // 000000002CD8: 8F3E8533
	s_lshl_b32 s62, s62, 5                                     // 000000002CDC: 8E3E853E
	s_mov_b32 s47, 0                                           // 000000002CE0: BEAF0080

0000000000002ce4 <label_0039>:
	s_cmp_lt_i32 s49, s62                                      // 000000002CE4: BF043E31
	s_cbranch_scc1 label_003E                                  // 000000002CE8: BF850003
	s_sub_i32 s49, s49, s62                                    // 000000002CEC: 81B13E31
	s_add_i32 s47, s47, 32                                     // 000000002CF0: 812FA02F
	s_branch label_0039                                        // 000000002CF4: BF82FFFB

0000000000002cf8 <label_003E>:
	s_sub_i32 s50, s50, s47                                    // 000000002CF8: 81B22F32
	s_cmp_lt_i32 s50, 32                                       // 000000002CFC: BF04A032
	s_cbranch_scc1 label_0044                                  // 000000002D00: BF850003
	s_lshr_b32 s48, s49, 5                                     // 000000002D04: 8F308531
	s_and_b32 s62, s49, 31                                     // 000000002D08: 863E9F31
	s_branch label_0064                                        // 000000002D0C: BF820020

0000000000002d10 <label_0044>:
	v_cvt_f32_u32_e32 v4, s50                                  // 000000002D10: 7E080C32
	s_sub_i32 s48, 0, s50                                      // 000000002D14: 81B03280
	v_rcp_iflag_f32_e32 v4, v4                                 // 000000002D18: 7E084704
	s_nop 0                                                    // 000000002D1C: BF800000
	v_mul_f32_e32 v4, 0x4f7ffffe, v4                           // 000000002D20: 0A0808FF 4F7FFFFE
	v_cvt_u32_f32_e32 v4, v4                                   // 000000002D28: 7E080F04
	v_mul_lo_u32 v5, s48, v4                                   // 000000002D2C: D2850005 00020830
	v_mul_hi_u32 v5, v4, v5                                    // 000000002D34: D2860005 00020B04
	v_add_u32_e32 v4, v4, v5                                   // 000000002D3C: 68080B04
	v_mul_hi_u32 v4, s49, v4                                   // 000000002D40: D2860004 00020831
	v_mul_lo_u32 v5, v4, s50                                   // 000000002D48: D2850005 00006504
	v_sub_u32_e32 v7, s49, v5                                  // 000000002D50: 6A0E0A31
	v_add_u32_e32 v6, 1, v4                                    // 000000002D54: 680C0881
	v_cmp_le_u32_e32 vcc, s50, v7                              // 000000002D58: 7D960E32
	v_subrev_u32_e32 v5, s50, v7                               // 000000002D5C: 6C0A0E32
	s_nop 0                                                    // 000000002D60: BF800000
	v_cndmask_b32_e32 v4, v4, v6, vcc                          // 000000002D64: 00080D04
	v_cndmask_b32_e32 v7, v7, v5, vcc                          // 000000002D68: 000E0B07
	v_add_u32_e32 v5, 1, v4                                    // 000000002D6C: 680A0881
	v_cmp_le_u32_e32 vcc, s50, v7                              // 000000002D70: 7D960E32
	s_nop 1                                                    // 000000002D74: BF800001
	v_cndmask_b32_e32 v7, v4, v5, vcc                          // 000000002D78: 000E0B04
	s_nop 3                                                    // 000000002D7C: BF800003
	v_readfirstlane_b32 s48, v7                                // 000000002D80: 7E600507
	s_nop 3                                                    // 000000002D84: BF800003
	s_mul_i32 s62, s50, s48                                    // 000000002D88: 923E3032
	s_sub_i32 s62, s49, s62                                    // 000000002D8C: 81BE3E31

0000000000002d90 <label_0064>:
	s_add_i32 s47, s62, s47                                    // 000000002D90: 812F2F3E
	s_lshr_b32 s37, s37, 1                                     // 000000002D94: 8F258125
	s_mul_i32 s62, s48, 32                                     // 000000002D98: 923EA030
	s_mul_hi_u32 s63, s37, s62                                 // 000000002D9C: 963F3E25
	s_add_u32 s13, s13, s63                                    // 000000002DA0: 800D3F0D
	s_mul_i32 s63, s37, s62                                    // 000000002DA4: 923F3E25
	s_add_u32 s12, s12, s63                                    // 000000002DA8: 800C3F0C
	s_addc_u32 s13, s13, 0                                     // 000000002DAC: 820D800D
	s_sub_i32 s63, s43, s62                                    // 000000002DB0: 81BF3E2B
	s_cmp_lt_u32 s63, 32                                       // 000000002DB4: BF0AA03F
	s_cselect_b32 s62, s63, 32                                 // 000000002DB8: 853EA03F
	s_mul_i32 s14, s37, s62                                    // 000000002DBC: 920E3E25
	s_mov_b32 s15, 0x20000                                     // 000000002DC0: BE8F00FF 00020000
	v_lshrrev_b32_e32 v4, 3, v0                                // 000000002DC8: 20080083
	v_lshrrev_b32_e32 v5, 2, v4                                // 000000002DCC: 200A0882
	v_lshlrev_b32_e32 v5, 4, v5                                // 000000002DD0: 240A0A84
	v_and_b32_e32 v4, 3, v4                                    // 000000002DD4: 26080883
	v_lshrrev_b32_e32 v6, 1, v4                                // 000000002DD8: 200C0881
	v_lshlrev_b32_e32 v6, 2, v6                                // 000000002DDC: 240C0C82
	v_add_u32_e32 v5, v5, v6                                   // 000000002DE0: 680A0D05
	v_and_b32_e32 v4, 1, v4                                    // 000000002DE4: 26080881
	v_add_u32_e32 v5, v5, v4                                   // 000000002DE8: 680A0905
	v_mul_lo_u32 v212, s37, v5                                 // 000000002DEC: D28500D4 00020A25
	v_and_b32_e32 v4, 7, v0                                    // 000000002DF4: 26080087
	v_lshlrev_b32_e32 v4, 4, v4                                // 000000002DF8: 24080884
	v_add_u32_e32 v212, v4, v212                               // 000000002DFC: 69A9A904
	s_lshr_b32 s62, s46, 1                                     // 000000002E00: 8F3E812E
	s_mul_i32 s62, s62, 8                                      // 000000002E04: 923E883E
	s_and_b32 s63, s46, 1                                      // 000000002E08: 863F812E
	s_mul_i32 s63, s63, 2                                      // 000000002E0C: 923F823F
	s_add_u32 s62, s62, s63                                    // 000000002E10: 803E3F3E
	s_mul_i32 s62, s37, s62                                    // 000000002E14: 923E3E25
	v_add_u32_e32 v212, s62, v212                              // 000000002E18: 69A9A83E
	s_mul_i32 s64, 0x420, s46                                  // 000000002E1C: 92402EFF 00000420
	s_add_u32 s64, 0x1000, s64                                 // 000000002E24: 804040FF 00001000
	v_and_b32_e32 v4, 15, v0                                   // 000000002E2C: 2608008F
	v_lshrrev_b32_e32 v5, 3, v4                                // 000000002E30: 200A0883
	v_mul_i32_i24_e32 v5, 2, v5                                // 000000002E34: 0C0A0A82
	v_and_b32_e32 v4, 3, v0                                    // 000000002E38: 26080083
	v_lshrrev_b32_e32 v6, 1, v4                                // 000000002E3C: 200C0881
	v_add_u32_e32 v4, v5, v6                                   // 000000002E40: 68080D05
	v_mul_i32_i24_e32 v213, 0x420, v4                          // 000000002E44: 0DAA08FF 00000420
	v_and_b32_e32 v4, 7, v0                                    // 000000002E4C: 26080087
	v_lshrrev_b32_e32 v5, 2, v4                                // 000000002E50: 200A0882
	v_mul_i32_i24_e32 v5, 0x100, v5                            // 000000002E54: 0C0A0AFF 00000100
	v_add_u32_e32 v213, v5, v213                               // 000000002E5C: 69ABAB05
	v_and_b32_e32 v4, 1, v0                                    // 000000002E60: 26080081
	v_mul_i32_i24_e32 v6, 0x80, v4                             // 000000002E64: 0C0C08FF 00000080
	v_add_u32_e32 v213, v6, v213                               // 000000002E6C: 69ABAB06
	v_lshrrev_b32_e32 v4, 4, v0                                // 000000002E70: 20080084
	v_mul_i32_i24_e32 v4, 16, v4                               // 000000002E74: 0C080890
	v_add_u32_e32 v213, v4, v213                               // 000000002E78: 69ABAB04
	v_add_u32_e32 v213, 0x1000, v213                           // 000000002E7C: 69ABAAFF 00001000
	v_add_u32_e32 v214, 0x1080, v213                           // 000000002E84: 69ADAAFF 00001080
	v_add_u32_e32 v215, 0x1080, v214                           // 000000002E8C: 69AFACFF 00001080
	v_add_u32_e32 v216, 0x1080, v215                           // 000000002E94: 69B1AEFF 00001080
	s_mul_i32 s62, s48, 32                                     // 000000002E9C: 923EA030
	s_mul_hi_u32 s63, s39, s62                                 // 000000002EA0: 963F3E27
	s_add_u32 s21, s21, s63                                    // 000000002EA4: 80153F15
	s_mul_i32 s63, s39, s62                                    // 000000002EA8: 923F3E27
	s_add_u32 s20, s20, s63                                    // 000000002EAC: 80143F14
	s_addc_u32 s21, s21, 0                                     // 000000002EB0: 82158015
	s_add_u32 s63, s43, 31                                     // 000000002EB4: 803F9F2B
	s_lshr_b32 s63, s63, 5                                     // 000000002EB8: 8F3F853F
	s_lshl_b32 s63, s63, 5                                     // 000000002EBC: 8E3F853F
	s_sub_i32 s63, s63, s62                                    // 000000002EC0: 81BF3E3F
	s_cmp_lt_u32 s63, 32                                       // 000000002EC4: BF0AA03F
	s_cselect_b32 s62, s63, 32                                 // 000000002EC8: 853EA03F
	s_mul_i32 s22, s39, s62                                    // 000000002ECC: 92163E27
	s_mov_b32 s23, 0x20000                                     // 000000002ED0: BE9700FF 00020000
	v_lshlrev_b32_e32 v217, 2, v0                              // 000000002ED8: 25B20082
	s_mul_i32 s63, s46, 32                                     // 000000002EDC: 923FA02E
	s_mul_i32 s63, s63, s39                                    // 000000002EE0: 923F273F
	v_add_u32_e32 v217, s63, v217                              // 000000002EE4: 69B3B23F
	s_mul_i32 s65, s46, 0x100                                  // 000000002EE8: 9241FF2E 00000100
	s_add_i32 s65, s65, 0                                      // 000000002EF0: 81418041
	v_lshlrev_b32_e32 v218, 2, v0                              // 000000002EF4: 25B40082
	v_add_u32_e32 v218, 0, v218                                // 000000002EF8: 69B5B480
	s_lshr_b32 s38, s38, 1                                     // 000000002EFC: 8F268126
	s_mul_i32 s62, s47, 0x400                                  // 000000002F00: 923EFF2F 00000400
	s_mul_hi_u32 s63, s38, s62                                 // 000000002F08: 963F3E26
	s_add_u32 s17, s17, s63                                    // 000000002F0C: 80113F11
	s_mul_i32 s63, s38, s62                                    // 000000002F10: 923F3E26
	s_add_u32 s16, s16, s63                                    // 000000002F14: 80103F10
	s_addc_u32 s17, s17, 0                                     // 000000002F18: 82118011
	s_sub_i32 s63, s44, s62                                    // 000000002F1C: 81BF3E2C
	s_cmp_lt_u32 s63, 0x400                                    // 000000002F20: BF0AFF3F 00000400
	s_cselect_b32 s62, s63, 0x400                              // 000000002F28: 853EFF3F 00000400
	s_mul_i32 s18, s38, s62                                    // 000000002F30: 92123E26
	s_mov_b32 s19, 0x20000                                     // 000000002F34: BE9300FF 00020000
	v_lshlrev_b32_e32 v219, 4, v0                              // 000000002F3C: 25B60084
	s_mul_i32 s63, s46, 0x100                                  // 000000002F40: 923FFF2E 00000100
	s_mul_i32 s62, s63, s38                                    // 000000002F48: 923E263F
	v_add_u32_e32 v219, s62, v219                              // 000000002F4C: 69B7B63E
	s_mul_i32 s62, 16, s38                                     // 000000002F50: 923E2690
	v_add_u32_e32 v220, s62, v219                              // 000000002F54: 69B9B63E
	v_add_u32_e32 v221, s62, v220                              // 000000002F58: 69BBB83E
	v_add_u32_e32 v222, s62, v221                              // 000000002F5C: 69BDBA3E
	v_add_u32_e32 v223, s62, v222                              // 000000002F60: 69BFBC3E
	v_add_u32_e32 v224, s62, v223                              // 000000002F64: 69C1BE3E
	v_add_u32_e32 v225, s62, v224                              // 000000002F68: 69C3C03E
	v_add_u32_e32 v226, s62, v225                              // 000000002F6C: 69C5C23E
	v_add_u32_e32 v227, s62, v226                              // 000000002F70: 69C7C43E
	v_add_u32_e32 v228, s62, v227                              // 000000002F74: 69C9C63E
	v_add_u32_e32 v229, s62, v228                              // 000000002F78: 69CBC83E
	v_add_u32_e32 v230, s62, v229                              // 000000002F7C: 69CDCA3E
	v_add_u32_e32 v231, s62, v230                              // 000000002F80: 69CFCC3E
	v_add_u32_e32 v232, s62, v231                              // 000000002F84: 69D1CE3E
	v_add_u32_e32 v233, s62, v232                              // 000000002F88: 69D3D03E
	v_add_u32_e32 v234, s62, v233                              // 000000002F8C: 69D5D23E
	s_mul_i32 s62, s47, 0x400                                  // 000000002F90: 923EFF2F 00000400
	s_mul_hi_u32 s63, s40, s62                                 // 000000002F98: 963F3E28
	s_add_u32 s25, s25, s63                                    // 000000002F9C: 80193F19
	s_mul_i32 s63, s40, s62                                    // 000000002FA0: 923F3E28
	s_add_u32 s24, s24, s63                                    // 000000002FA4: 80183F18
	s_addc_u32 s25, s25, 0                                     // 000000002FA8: 82198019
	s_sub_i32 s63, s44, s62                                    // 000000002FAC: 81BF3E2C
	s_cmp_lt_u32 s63, 0x400                                    // 000000002FB0: BF0AFF3F 00000400
	s_cselect_b32 s62, s63, 0x400                              // 000000002FB8: 853EFF3F 00000400
	s_mul_i32 s26, s40, s62                                    // 000000002FC0: 921A3E28
	s_mov_b32 s27, 0x20000                                     // 000000002FC4: BE9B00FF 00020000
	v_lshlrev_b32_e32 v235, 2, v0                              // 000000002FCC: 25D60082
	s_mul_i32 s63, s46, 0x100                                  // 000000002FD0: 923FFF2E 00000100
	s_mul_i32 s63, s63, s40                                    // 000000002FD8: 923F283F
	v_add_u32_e32 v235, s63, v235                              // 000000002FDC: 69D7D63F
	s_mul_i32 s62, 32, s40                                     // 000000002FE0: 923E28A0
	v_add_u32_e32 v236, s62, v235                              // 000000002FE4: 69D9D63E
	v_add_u32_e32 v237, s62, v236                              // 000000002FE8: 69DBD83E
	v_add_u32_e32 v238, s62, v237                              // 000000002FEC: 69DDDA3E
	v_add_u32_e32 v239, s62, v238                              // 000000002FF0: 69DFDC3E
	v_add_u32_e32 v240, s62, v239                              // 000000002FF4: 69E1DE3E
	v_add_u32_e32 v241, s62, v240                              // 000000002FF8: 69E3E03E
	v_add_u32_e32 v242, s62, v241                              // 000000002FFC: 69E5E23E
	s_mov_b32 s66, 0x80                                        // 000000003000: BEC200FF 00000080
	s_mov_b32 s67, 0x800                                       // 000000003008: BEC300FF 00000800
	s_mov_b32 s68, 0x100                                       // 000000003010: BEC400FF 00000100
	s_mov_b32 s69, 0x100                                       // 000000003018: BEC500FF 00000100
	s_mov_b32 s60, 0                                           // 000000003020: BEBC0080
	s_mov_b32 s61, s45                                         // 000000003024: BEBD002D
	s_add_u32 m0, 0, s65                                       // 000000003028: 807C4180
	buffer_load_dword v217, s[20:23], 0 offen lds              // 00000000302C: E0511000 800500D9
	v_accvgpr_write_b32 a0, 0                                  // 000000003034: D3D94000 18000080
	v_accvgpr_write_b32 a1, 0                                  // 00000000303C: D3D94001 18000080
	v_accvgpr_write_b32 a2, 0                                  // 000000003044: D3D94002 18000080
	v_accvgpr_write_b32 a3, 0                                  // 00000000304C: D3D94003 18000080
	v_accvgpr_write_b32 a4, 0                                  // 000000003054: D3D94004 18000080
	v_accvgpr_write_b32 a5, 0                                  // 00000000305C: D3D94005 18000080
	s_add_u32 m0, 0, s64                                       // 000000003064: 807C4080
	buffer_load_dwordx4 v212, s[12:15], 0 offen lds            // 000000003068: E05D1000 800300D4
	v_accvgpr_write_b32 a6, 0                                  // 000000003070: D3D94006 18000080
	v_accvgpr_write_b32 a7, 0                                  // 000000003078: D3D94007 18000080
	v_accvgpr_write_b32 a8, 0                                  // 000000003080: D3D94008 18000080
	v_accvgpr_write_b32 a9, 0                                  // 000000003088: D3D94009 18000080
	v_accvgpr_write_b32 a10, 0                                 // 000000003090: D3D9400A 18000080
	v_accvgpr_write_b32 a11, 0                                 // 000000003098: D3D9400B 18000080
	s_add_u32 s62, 0x100, s60                                  // 0000000030A0: 803E3CFF 00000100
	s_cmp_lt_u32 s62, s61                                      // 0000000030A8: BF0A3D3E
	s_cselect_b32 s66, s66, 0                                  // 0000000030AC: 85428042
	s_cselect_b32 s68, s68, 0                                  // 0000000030B0: 85448044
	s_add_u32 s12, s12, s66                                    // 0000000030B4: 800C420C
	s_addc_u32 s13, 0, s13                                     // 0000000030B8: 820D0D80
	s_sub_u32 s14, s14, s66                                    // 0000000030BC: 808E420E
	s_add_u32 s20, s20, s68                                    // 0000000030C0: 80144414
	s_addc_u32 s21, 0, s21                                     // 0000000030C4: 82151580
	s_sub_u32 s22, s22, s68                                    // 0000000030C8: 80964416
	s_add_u32 m0, 0x400, s65                                   // 0000000030CC: 807C41FF 00000400
	buffer_load_dword v217, s[20:23], 0 offen lds              // 0000000030D4: E0511000 800500D9
	v_accvgpr_write_b32 a12, 0                                 // 0000000030DC: D3D9400C 18000080
	v_accvgpr_write_b32 a13, 0                                 // 0000000030E4: D3D9400D 18000080
	v_accvgpr_write_b32 a14, 0                                 // 0000000030EC: D3D9400E 18000080
	v_accvgpr_write_b32 a15, 0                                 // 0000000030F4: D3D9400F 18000080
	v_accvgpr_write_b32 a16, 0                                 // 0000000030FC: D3D94010 18000080
	v_accvgpr_write_b32 a17, 0                                 // 000000003104: D3D94011 18000080
	s_add_u32 m0, 0x1080, s64                                  // 00000000310C: 807C40FF 00001080
	buffer_load_dwordx4 v212, s[12:15], 0 offen lds            // 000000003114: E05D1000 800300D4
	v_accvgpr_write_b32 a18, 0                                 // 00000000311C: D3D94012 18000080
	v_accvgpr_write_b32 a19, 0                                 // 000000003124: D3D94013 18000080
	v_accvgpr_write_b32 a20, 0                                 // 00000000312C: D3D94014 18000080
	v_accvgpr_write_b32 a21, 0                                 // 000000003134: D3D94015 18000080
	v_accvgpr_write_b32 a22, 0                                 // 00000000313C: D3D94016 18000080
	v_accvgpr_write_b32 a23, 0                                 // 000000003144: D3D94017 18000080
	buffer_load_dwordx4 v[72:75], v219, s[16:19], 0 offen      // 00000000314C: E05C1000 800448DB
	v_accvgpr_write_b32 a24, 0                                 // 000000003154: D3D94018 18000080
	v_accvgpr_write_b32 a25, 0                                 // 00000000315C: D3D94019 18000080
	v_accvgpr_write_b32 a26, 0                                 // 000000003164: D3D9401A 18000080
	v_accvgpr_write_b32 a27, 0                                 // 00000000316C: D3D9401B 18000080
	v_accvgpr_write_b32 a28, 0                                 // 000000003174: D3D9401C 18000080
	v_accvgpr_write_b32 a29, 0                                 // 00000000317C: D3D9401D 18000080
	buffer_load_dwordx4 v[76:79], v220, s[16:19], 0 offen      // 000000003184: E05C1000 80044CDC
	v_accvgpr_write_b32 a30, 0                                 // 00000000318C: D3D9401E 18000080
	v_accvgpr_write_b32 a31, 0                                 // 000000003194: D3D9401F 18000080
	v_accvgpr_write_b32 a32, 0                                 // 00000000319C: D3D94020 18000080
	v_accvgpr_write_b32 a33, 0                                 // 0000000031A4: D3D94021 18000080
	v_accvgpr_write_b32 a34, 0                                 // 0000000031AC: D3D94022 18000080
	v_accvgpr_write_b32 a35, 0                                 // 0000000031B4: D3D94023 18000080
	buffer_load_dwordx4 v[80:83], v219, s[16:19], 0 offen offset:1024// 0000000031BC: E05C1400 800450DB
	v_accvgpr_write_b32 a36, 0                                 // 0000000031C4: D3D94024 18000080
	v_accvgpr_write_b32 a37, 0                                 // 0000000031CC: D3D94025 18000080
	v_accvgpr_write_b32 a38, 0                                 // 0000000031D4: D3D94026 18000080
	v_accvgpr_write_b32 a39, 0                                 // 0000000031DC: D3D94027 18000080
	v_accvgpr_write_b32 a40, 0                                 // 0000000031E4: D3D94028 18000080
	v_accvgpr_write_b32 a41, 0                                 // 0000000031EC: D3D94029 18000080
	buffer_load_dwordx4 v[84:87], v220, s[16:19], 0 offen offset:1024// 0000000031F4: E05C1400 800454DC
	v_accvgpr_write_b32 a42, 0                                 // 0000000031FC: D3D9402A 18000080
	v_accvgpr_write_b32 a43, 0                                 // 000000003204: D3D9402B 18000080
	v_accvgpr_write_b32 a44, 0                                 // 00000000320C: D3D9402C 18000080
	v_accvgpr_write_b32 a45, 0                                 // 000000003214: D3D9402D 18000080
	v_accvgpr_write_b32 a46, 0                                 // 00000000321C: D3D9402E 18000080
	v_accvgpr_write_b32 a47, 0                                 // 000000003224: D3D9402F 18000080
	buffer_load_dword v204, v235, s[24:27], 0 offen            // 00000000322C: E0501000 8006CCEB
	v_accvgpr_write_b32 a48, 0                                 // 000000003234: D3D94030 18000080
	v_accvgpr_write_b32 a49, 0                                 // 00000000323C: D3D94031 18000080
	v_accvgpr_write_b32 a50, 0                                 // 000000003244: D3D94032 18000080
	v_accvgpr_write_b32 a51, 0                                 // 00000000324C: D3D94033 18000080
	v_accvgpr_write_b32 a52, 0                                 // 000000003254: D3D94034 18000080
	v_accvgpr_write_b32 a53, 0                                 // 00000000325C: D3D94035 18000080
	s_add_u32 s62, 0x200, s60                                  // 000000003264: 803E3CFF 00000200
	s_cmp_lt_u32 s62, s61                                      // 00000000326C: BF0A3D3E
	s_cselect_b32 s66, s66, 0                                  // 000000003270: 85428042
	s_cselect_b32 s68, s68, 0                                  // 000000003274: 85448044
	s_add_u32 s12, s12, s66                                    // 000000003278: 800C420C
	s_addc_u32 s13, 0, s13                                     // 00000000327C: 820D0D80
	s_sub_u32 s14, s14, s66                                    // 000000003280: 808E420E
	s_add_u32 s20, s20, s68                                    // 000000003284: 80144414
	s_addc_u32 s21, 0, s21                                     // 000000003288: 82151580
	s_sub_u32 s22, s22, s68                                    // 00000000328C: 80964416
	buffer_load_dwordx4 v[88:91], v221, s[16:19], 0 offen      // 000000003290: E05C1000 800458DD
	v_accvgpr_write_b32 a54, 0                                 // 000000003298: D3D94036 18000080
	v_accvgpr_write_b32 a55, 0                                 // 0000000032A0: D3D94037 18000080
	v_accvgpr_write_b32 a56, 0                                 // 0000000032A8: D3D94038 18000080
	v_accvgpr_write_b32 a57, 0                                 // 0000000032B0: D3D94039 18000080
	v_accvgpr_write_b32 a58, 0                                 // 0000000032B8: D3D9403A 18000080
	v_accvgpr_write_b32 a59, 0                                 // 0000000032C0: D3D9403B 18000080
	buffer_load_dwordx4 v[92:95], v222, s[16:19], 0 offen      // 0000000032C8: E05C1000 80045CDE
	v_accvgpr_write_b32 a60, 0                                 // 0000000032D0: D3D9403C 18000080
	v_accvgpr_write_b32 a61, 0                                 // 0000000032D8: D3D9403D 18000080
	v_accvgpr_write_b32 a62, 0                                 // 0000000032E0: D3D9403E 18000080
	v_accvgpr_write_b32 a63, 0                                 // 0000000032E8: D3D9403F 18000080
	v_accvgpr_write_b32 a64, 0                                 // 0000000032F0: D3D94040 18000080
	v_accvgpr_write_b32 a65, 0                                 // 0000000032F8: D3D94041 18000080
	buffer_load_dwordx4 v[96:99], v221, s[16:19], 0 offen offset:1024// 000000003300: E05C1400 800460DD
	v_accvgpr_write_b32 a66, 0                                 // 000000003308: D3D94042 18000080
	v_accvgpr_write_b32 a67, 0                                 // 000000003310: D3D94043 18000080
	v_accvgpr_write_b32 a68, 0                                 // 000000003318: D3D94044 18000080
	v_accvgpr_write_b32 a69, 0                                 // 000000003320: D3D94045 18000080
	v_accvgpr_write_b32 a70, 0                                 // 000000003328: D3D94046 18000080
	v_accvgpr_write_b32 a71, 0                                 // 000000003330: D3D94047 18000080
	buffer_load_dwordx4 v[100:103], v222, s[16:19], 0 offen offset:1024// 000000003338: E05C1400 800464DE
	v_accvgpr_write_b32 a72, 0                                 // 000000003340: D3D94048 18000080
	v_accvgpr_write_b32 a73, 0                                 // 000000003348: D3D94049 18000080
	v_accvgpr_write_b32 a74, 0                                 // 000000003350: D3D9404A 18000080
	v_accvgpr_write_b32 a75, 0                                 // 000000003358: D3D9404B 18000080
	v_accvgpr_write_b32 a76, 0                                 // 000000003360: D3D9404C 18000080
	v_accvgpr_write_b32 a77, 0                                 // 000000003368: D3D9404D 18000080
	buffer_load_dword v205, v236, s[24:27], 0 offen            // 000000003370: E0501000 8006CDEC
	v_accvgpr_write_b32 a78, 0                                 // 000000003378: D3D9404E 18000080
	v_accvgpr_write_b32 a79, 0                                 // 000000003380: D3D9404F 18000080
	v_accvgpr_write_b32 a80, 0                                 // 000000003388: D3D94050 18000080
	v_accvgpr_write_b32 a81, 0                                 // 000000003390: D3D94051 18000080
	v_accvgpr_write_b32 a82, 0                                 // 000000003398: D3D94052 18000080
	v_accvgpr_write_b32 a83, 0                                 // 0000000033A0: D3D94053 18000080
	buffer_load_dwordx4 v[104:107], v223, s[16:19], 0 offen    // 0000000033A8: E05C1000 800468DF
	v_accvgpr_write_b32 a84, 0                                 // 0000000033B0: D3D94054 18000080
	v_accvgpr_write_b32 a85, 0                                 // 0000000033B8: D3D94055 18000080
	v_accvgpr_write_b32 a86, 0                                 // 0000000033C0: D3D94056 18000080
	v_accvgpr_write_b32 a87, 0                                 // 0000000033C8: D3D94057 18000080
	v_accvgpr_write_b32 a88, 0                                 // 0000000033D0: D3D94058 18000080
	v_accvgpr_write_b32 a89, 0                                 // 0000000033D8: D3D94059 18000080
	buffer_load_dwordx4 v[108:111], v224, s[16:19], 0 offen    // 0000000033E0: E05C1000 80046CE0
	v_accvgpr_write_b32 a90, 0                                 // 0000000033E8: D3D9405A 18000080
	v_accvgpr_write_b32 a91, 0                                 // 0000000033F0: D3D9405B 18000080
	v_accvgpr_write_b32 a92, 0                                 // 0000000033F8: D3D9405C 18000080
	v_accvgpr_write_b32 a93, 0                                 // 000000003400: D3D9405D 18000080
	v_accvgpr_write_b32 a94, 0                                 // 000000003408: D3D9405E 18000080
	v_accvgpr_write_b32 a95, 0                                 // 000000003410: D3D9405F 18000080
	buffer_load_dwordx4 v[112:115], v223, s[16:19], 0 offen offset:1024// 000000003418: E05C1400 800470DF
	v_accvgpr_write_b32 a96, 0                                 // 000000003420: D3D94060 18000080
	v_accvgpr_write_b32 a97, 0                                 // 000000003428: D3D94061 18000080
	v_accvgpr_write_b32 a98, 0                                 // 000000003430: D3D94062 18000080
	v_accvgpr_write_b32 a99, 0                                 // 000000003438: D3D94063 18000080
	v_accvgpr_write_b32 a100, 0                                // 000000003440: D3D94064 18000080
	v_accvgpr_write_b32 a101, 0                                // 000000003448: D3D94065 18000080
	buffer_load_dwordx4 v[116:119], v224, s[16:19], 0 offen offset:1024// 000000003450: E05C1400 800474E0
	v_accvgpr_write_b32 a102, 0                                // 000000003458: D3D94066 18000080
	v_accvgpr_write_b32 a103, 0                                // 000000003460: D3D94067 18000080
	v_accvgpr_write_b32 a104, 0                                // 000000003468: D3D94068 18000080
	v_accvgpr_write_b32 a105, 0                                // 000000003470: D3D94069 18000080
	v_accvgpr_write_b32 a106, 0                                // 000000003478: D3D9406A 18000080
	v_accvgpr_write_b32 a107, 0                                // 000000003480: D3D9406B 18000080
	buffer_load_dword v206, v237, s[24:27], 0 offen            // 000000003488: E0501000 8006CEED
	v_accvgpr_write_b32 a108, 0                                // 000000003490: D3D9406C 18000080
	v_accvgpr_write_b32 a109, 0                                // 000000003498: D3D9406D 18000080
	v_accvgpr_write_b32 a110, 0                                // 0000000034A0: D3D9406E 18000080
	v_accvgpr_write_b32 a111, 0                                // 0000000034A8: D3D9406F 18000080
	v_accvgpr_write_b32 a112, 0                                // 0000000034B0: D3D94070 18000080
	v_accvgpr_write_b32 a113, 0                                // 0000000034B8: D3D94071 18000080
	v_accvgpr_write_b32 a114, 0                                // 0000000034C0: D3D94072 18000080
	v_accvgpr_write_b32 a115, 0                                // 0000000034C8: D3D94073 18000080
	v_accvgpr_write_b32 a116, 0                                // 0000000034D0: D3D94074 18000080
	v_accvgpr_write_b32 a117, 0                                // 0000000034D8: D3D94075 18000080
	v_accvgpr_write_b32 a118, 0                                // 0000000034E0: D3D94076 18000080
	v_accvgpr_write_b32 a119, 0                                // 0000000034E8: D3D94077 18000080
	v_accvgpr_write_b32 a120, 0                                // 0000000034F0: D3D94078 18000080
	v_accvgpr_write_b32 a121, 0                                // 0000000034F8: D3D94079 18000080
	v_accvgpr_write_b32 a122, 0                                // 000000003500: D3D9407A 18000080
	v_accvgpr_write_b32 a123, 0                                // 000000003508: D3D9407B 18000080
	v_accvgpr_write_b32 a124, 0                                // 000000003510: D3D9407C 18000080
	v_accvgpr_write_b32 a125, 0                                // 000000003518: D3D9407D 18000080
	v_accvgpr_write_b32 a126, 0                                // 000000003520: D3D9407E 18000080
	v_accvgpr_write_b32 a127, 0                                // 000000003528: D3D9407F 18000080
	s_waitcnt vmcnt(15)                                        // 000000003530: BF8C0F7F
	s_barrier                                                  // 000000003534: BF8A0000
	ds_read_b128 v[8:11], v213                                 // 000000003538: D9FE0000 080000D5
	ds_read_b128 v[16:19], v213 offset:64                      // 000000003540: D9FE0040 100000D5
	ds_read_b128 v[12:15], v213 offset:512                     // 000000003548: D9FE0200 0C0000D5
	ds_read_b128 v[20:23], v213 offset:576                     // 000000003550: D9FE0240 140000D5
	ds_read_b32 v200, v218                                     // 000000003558: D86C0000 C80000DA
	ds_read_b128 v[24:27], v214                                // 000000003560: D9FE0000 180000D6
	ds_read_b128 v[32:35], v214 offset:64                      // 000000003568: D9FE0040 200000D6
	ds_read_b128 v[28:31], v214 offset:512                     // 000000003570: D9FE0200 1C0000D6
	ds_read_b128 v[36:39], v214 offset:576                     // 000000003578: D9FE0240 240000D6
	ds_read_b32 v201, v218 offset:1024                         // 000000003580: D86C0400 C90000DA
	s_nop 0                                                    // 000000003588: BF800000
	s_nop 0                                                    // 00000000358C: BF800000
	s_nop 0                                                    // 000000003590: BF800000
	s_nop 0                                                    // 000000003594: BF800000
	s_nop 0                                                    // 000000003598: BF800000
	s_lshl_b32 s36, s36, 1                                     // 00000000359C: 8E248124
	s_mul_i32 s62, s48, 32                                     // 0000000035A0: 923EA030
	s_mul_hi_u32 s63, s36, s62                                 // 0000000035A4: 963F3E24
	s_add_u32 s5, s5, s63                                      // 0000000035A8: 80053F05
	s_mul_i32 s63, s36, s62                                    // 0000000035AC: 923F3E24
	s_add_u32 s4, s4, s63                                      // 0000000035B0: 80043F04
	s_addc_u32 s5, s5, 0                                       // 0000000035B4: 82058005
	s_mul_i32 s63, s47, 0x400                                  // 0000000035B8: 923FFF2F 00000400
	s_lshl_b32 s63, s63, 1                                     // 0000000035C0: 8E3F813F
	s_add_u32 s4, s4, s63                                      // 0000000035C4: 80043F04
	s_addc_u32 s5, s5, 0                                       // 0000000035C8: 82058005
	s_sub_i32 s62, s43, s62                                    // 0000000035CC: 81BE3E2B
	s_cmp_lt_u32 s62, 32                                       // 0000000035D0: BF0AA03E
	s_cselect_b32 s62, s62, 32                                 // 0000000035D4: 853EA03E
	s_mul_i32 s62, s36, s62                                    // 0000000035D8: 923E3E24
	s_sub_i32 s6, s62, s63                                     // 0000000035DC: 81863F3E
	s_mov_b32 s7, 0x20000                                      // 0000000035E0: BE8700FF 00020000
	s_mul_i32 s62, s46, 0x100                                  // 0000000035E8: 923EFF2E 00000100
	s_lshl_b32 s62, s62, 1                                     // 0000000035F0: 8E3E813E
	v_lshrrev_b32_e32 v4, 5, v0                                // 0000000035F4: 20080085
	v_mul_i32_i24_e32 v4, 16, v4                               // 0000000035F8: 0C080890
	v_lshrrev_b32_e32 v5, 4, v0                                // 0000000035FC: 200A0084
	v_and_b32_e32 v5, 1, v5                                    // 000000003600: 260A0A81
	v_mul_i32_i24_e32 v5, 32, v5                               // 000000003604: 0C0A0AA0
	v_add_u32_e32 v4, v4, v5                                   // 000000003608: 68080B04
	v_and_b32_e32 v5, 15, v0                                   // 00000000360C: 260A008F
	v_mul_lo_u32 v243, s36, v5                                 // 000000003610: D28500F3 00020A24
	v_add_u32_e32 v243, s62, v243                              // 000000003618: 69E7E63E
	v_add_u32_e32 v243, v4, v243                               // 00000000361C: 69E7E704
	s_cmp_lt_i32 s46, 2                                        // 000000003620: BF04822E
	s_cbranch_scc0 label_0899                                  // 000000003624: BF84060F

0000000000003628 <label_028A>:
	s_waitcnt vmcnt(10) lgkmcnt(5)                             // 000000003628: BF8C057A
	v_mfma_scale_f32_16x16x128_f8f6f4 a[0:3], v[72:75], v[8:11], a[0:3], v204, v200 op_sel_hi:[0,0,0] cbsz:4 blgp:4// 00000000362C: D3AC6000 000391CC D3AD8C00 84021148
	v_mfma_scale_f32_16x16x128_f8f6f4 a[4:7], v[72:75], v[12:15], a[4:7], v204, v200 op_sel_hi:[0,0,0] cbsz:4 blgp:4// 00000000363C: D3AC7000 000391CC D3AD8C04 84121948
	buffer_load_dwordx4 v[120:123], v225, s[16:19], 0 offen    // 00000000364C: E05C1000 800478E1
	v_mfma_scale_f32_16x16x128_f8f6f4 a[8:11], v[76:79], v[8:11], a[8:11], v204, v200 op_sel_hi:[0,0,0] cbsz:4 blgp:4// 000000003654: D3AC6800 000391CC D3AD8C08 8422114C
	v_mfma_scale_f32_16x16x128_f8f6f4 a[12:15], v[76:79], v[12:15], a[12:15], v204, v200 op_sel_hi:[0,0,0] cbsz:4 blgp:4// 000000003664: D3AC7800 000391CC D3AD8C0C 8432194C
	buffer_load_dwordx4 v[124:127], v226, s[16:19], 0 offen    // 000000003674: E05C1000 80047CE2
	v_mfma_scale_f32_16x16x128_f8f6f4 a[0:3], v[80:83], v[16:19], a[0:3], v204, v200 op_sel_hi:[0,0,0] cbsz:4 blgp:4// 00000000367C: D3AC6000 180391CC D3AD8C00 84022150
	v_mfma_scale_f32_16x16x128_f8f6f4 a[4:7], v[80:83], v[20:23], a[4:7], v204, v200 op_sel_hi:[0,0,0] cbsz:4 blgp:4// 00000000368C: D3AC7000 180391CC D3AD8C04 84122950
	buffer_load_dwordx4 v[128:131], v225, s[16:19], 0 offen offset:1024// 00000000369C: E05C1400 800480E1
	v_mfma_scale_f32_16x16x128_f8f6f4 a[8:11], v[84:87], v[16:19], a[8:11], v204, v200 op_sel_hi:[0,0,0] cbsz:4 blgp:4// 0000000036A4: D3AC6800 180391CC D3AD8C08 84222154
	v_mfma_scale_f32_16x16x128_f8f6f4 a[12:15], v[84:87], v[20:23], a[12:15], v204, v200 op_sel_hi:[0,0,0] cbsz:4 blgp:4// 0000000036B4: D3AC7800 180391CC D3AD8C0C 84322954
	buffer_load_dwordx4 v[132:135], v226, s[16:19], 0 offen offset:1024// 0000000036C4: E05C1400 800484E2
	buffer_load_dword v207, v238, s[24:27], 0 offen            // 0000000036CC: E0501000 8006CFEE
	s_waitcnt vmcnt(10)                                        // 0000000036D4: BF8C0F7A
	v_mfma_scale_f32_16x16x128_f8f6f4 a[16:19], v[88:91], v[8:11], a[16:19], v205, v200 op_sel_hi:[0,0,0] cbsz:4 blgp:4// 0000000036D8: D3AC6000 000391CD D3AD8C10 84421158
	v_mfma_scale_f32_16x16x128_f8f6f4 a[20:23], v[88:91], v[12:15], a[20:23], v205, v200 op_sel_hi:[0,0,0] cbsz:4 blgp:4// 0000000036E8: D3AC7000 000391CD D3AD8C14 84521958
	buffer_load_dwordx4 v[136:139], v227, s[16:19], 0 offen    // 0000000036F8: E05C1000 800488E3
	v_mfma_scale_f32_16x16x128_f8f6f4 a[24:27], v[92:95], v[8:11], a[24:27], v205, v200 op_sel_hi:[0,0,0] cbsz:4 blgp:4// 000000003700: D3AC6800 000391CD D3AD8C18 8462115C
	v_mfma_scale_f32_16x16x128_f8f6f4 a[28:31], v[92:95], v[12:15], a[28:31], v205, v200 op_sel_hi:[0,0,0] cbsz:4 blgp:4// 000000003710: D3AC7800 000391CD D3AD8C1C 8472195C
	buffer_load_dwordx4 v[140:143], v228, s[16:19], 0 offen    // 000000003720: E05C1000 80048CE4
	v_mfma_scale_f32_16x16x128_f8f6f4 a[16:19], v[96:99], v[16:19], a[16:19], v205, v200 op_sel_hi:[0,0,0] cbsz:4 blgp:4// 000000003728: D3AC6000 180391CD D3AD8C10 84422160
	v_mfma_scale_f32_16x16x128_f8f6f4 a[20:23], v[96:99], v[20:23], a[20:23], v205, v200 op_sel_hi:[0,0,0] cbsz:4 blgp:4// 000000003738: D3AC7000 180391CD D3AD8C14 84522960
	buffer_load_dwordx4 v[144:147], v227, s[16:19], 0 offen offset:1024// 000000003748: E05C1400 800490E3
	v_mfma_scale_f32_16x16x128_f8f6f4 a[24:27], v[100:103], v[16:19], a[24:27], v205, v200 op_sel_hi:[0,0,0] cbsz:4 blgp:4// 000000003750: D3AC6800 180391CD D3AD8C18 84622164
	v_mfma_scale_f32_16x16x128_f8f6f4 a[28:31], v[100:103], v[20:23], a[28:31], v205, v200 op_sel_hi:[0,0,0] cbsz:4 blgp:4// 000000003760: D3AC7800 180391CD D3AD8C1C 84722964
	buffer_load_dwordx4 v[148:151], v228, s[16:19], 0 offen offset:1024// 000000003770: E05C1400 800494E4
	buffer_load_dword v208, v239, s[24:27], 0 offen            // 000000003778: E0501000 8006D0EF
	s_waitcnt vmcnt(10)                                        // 000000003780: BF8C0F7A
	v_mfma_scale_f32_16x16x128_f8f6f4 a[32:35], v[104:107], v[8:11], a[32:35], v206, v200 op_sel_hi:[0,0,0] cbsz:4 blgp:4// 000000003784: D3AC6000 000391CE D3AD8C20 84821168
	v_mfma_scale_f32_16x16x128_f8f6f4 a[36:39], v[104:107], v[12:15], a[36:39], v206, v200 op_sel_hi:[0,0,0] cbsz:4 blgp:4// 000000003794: D3AC7000 000391CE D3AD8C24 84921968
	buffer_load_dwordx4 v[152:155], v229, s[16:19], 0 offen    // 0000000037A4: E05C1000 800498E5
	v_mfma_scale_f32_16x16x128_f8f6f4 a[40:43], v[108:111], v[8:11], a[40:43], v206, v200 op_sel_hi:[0,0,0] cbsz:4 blgp:4// 0000000037AC: D3AC6800 000391CE D3AD8C28 84A2116C
	v_mfma_scale_f32_16x16x128_f8f6f4 a[44:47], v[108:111], v[12:15], a[44:47], v206, v200 op_sel_hi:[0,0,0] cbsz:4 blgp:4// 0000000037BC: D3AC7800 000391CE D3AD8C2C 84B2196C
	buffer_load_dwordx4 v[156:159], v230, s[16:19], 0 offen    // 0000000037CC: E05C1000 80049CE6
	v_mfma_scale_f32_16x16x128_f8f6f4 a[32:35], v[112:115], v[16:19], a[32:35], v206, v200 op_sel_hi:[0,0,0] cbsz:4 blgp:4// 0000000037D4: D3AC6000 180391CE D3AD8C20 84822170
	v_mfma_scale_f32_16x16x128_f8f6f4 a[36:39], v[112:115], v[20:23], a[36:39], v206, v200 op_sel_hi:[0,0,0] cbsz:4 blgp:4// 0000000037E4: D3AC7000 180391CE D3AD8C24 84922970
	buffer_load_dwordx4 v[160:163], v229, s[16:19], 0 offen offset:1024// 0000000037F4: E05C1400 8004A0E5
	v_mfma_scale_f32_16x16x128_f8f6f4 a[40:43], v[116:119], v[16:19], a[40:43], v206, v200 op_sel_hi:[0,0,0] cbsz:4 blgp:4// 0000000037FC: D3AC6800 180391CE D3AD8C28 84A22174
	v_mfma_scale_f32_16x16x128_f8f6f4 a[44:47], v[116:119], v[20:23], a[44:47], v206, v200 op_sel_hi:[0,0,0] cbsz:4 blgp:4// 00000000380C: D3AC7800 180391CE D3AD8C2C 84B22974
	buffer_load_dwordx4 v[164:167], v230, s[16:19], 0 offen offset:1024// 00000000381C: E05C1400 8004A4E6
	buffer_load_dword v209, v240, s[24:27], 0 offen            // 000000003824: E0501000 8006D1F0
	s_waitcnt vmcnt(10)                                        // 00000000382C: BF8C0F7A
	v_mfma_scale_f32_16x16x128_f8f6f4 a[48:51], v[120:123], v[8:11], a[48:51], v207, v200 op_sel_hi:[0,0,0] cbsz:4 blgp:4// 000000003830: D3AC6000 000391CF D3AD8C30 84C21178
	v_mfma_scale_f32_16x16x128_f8f6f4 a[52:55], v[120:123], v[12:15], a[52:55], v207, v200 op_sel_hi:[0,0,0] cbsz:4 blgp:4// 000000003840: D3AC7000 000391CF D3AD8C34 84D21978
	buffer_load_dwordx4 v[168:171], v231, s[16:19], 0 offen    // 000000003850: E05C1000 8004A8E7
	v_mfma_scale_f32_16x16x128_f8f6f4 a[56:59], v[124:127], v[8:11], a[56:59], v207, v200 op_sel_hi:[0,0,0] cbsz:4 blgp:4// 000000003858: D3AC6800 000391CF D3AD8C38 84E2117C
	v_mfma_scale_f32_16x16x128_f8f6f4 a[60:63], v[124:127], v[12:15], a[60:63], v207, v200 op_sel_hi:[0,0,0] cbsz:4 blgp:4// 000000003868: D3AC7800 000391CF D3AD8C3C 84F2197C
	buffer_load_dwordx4 v[172:175], v232, s[16:19], 0 offen    // 000000003878: E05C1000 8004ACE8
	v_mfma_scale_f32_16x16x128_f8f6f4 a[48:51], v[128:131], v[16:19], a[48:51], v207, v200 op_sel_hi:[0,0,0] cbsz:4 blgp:4// 000000003880: D3AC6000 180391CF D3AD8C30 84C22180
	v_mfma_scale_f32_16x16x128_f8f6f4 a[52:55], v[128:131], v[20:23], a[52:55], v207, v200 op_sel_hi:[0,0,0] cbsz:4 blgp:4// 000000003890: D3AC7000 180391CF D3AD8C34 84D22980
	buffer_load_dwordx4 v[176:179], v231, s[16:19], 0 offen offset:1024// 0000000038A0: E05C1400 8004B0E7
	v_mfma_scale_f32_16x16x128_f8f6f4 a[56:59], v[132:135], v[16:19], a[56:59], v207, v200 op_sel_hi:[0,0,0] cbsz:4 blgp:4// 0000000038A8: D3AC6800 180391CF D3AD8C38 84E22184
	v_mfma_scale_f32_16x16x128_f8f6f4 a[60:63], v[132:135], v[20:23], a[60:63], v207, v200 op_sel_hi:[0,0,0] cbsz:4 blgp:4// 0000000038B8: D3AC7800 180391CF D3AD8C3C 84F22984
	buffer_load_dwordx4 v[180:183], v232, s[16:19], 0 offen offset:1024// 0000000038C8: E05C1400 8004B4E8
	buffer_load_dword v210, v241, s[24:27], 0 offen            // 0000000038D0: E0501000 8006D2F1
	s_waitcnt vmcnt(10)                                        // 0000000038D8: BF8C0F7A
	v_mfma_scale_f32_16x16x128_f8f6f4 a[64:67], v[136:139], v[8:11], a[64:67], v208, v200 op_sel_hi:[0,0,0] cbsz:4 blgp:4// 0000000038DC: D3AC6000 000391D0 D3AD8C40 85021188
	s_add_u32 s63, 0x100, s60                                  // 0000000038EC: 803F3CFF 00000100
	s_cmp_lt_u32 s63, s61                                      // 0000000038F4: BF0A3D3F
	v_mfma_scale_f32_16x16x128_f8f6f4 a[68:71], v[136:139], v[12:15], a[68:71], v208, v200 op_sel_hi:[0,0,0] cbsz:4 blgp:4// 0000000038F8: D3AC7000 000391D0 D3AD8C44 85121988
	s_cselect_b32 s67, s67, 0                                  // 000000003908: 85438043
	buffer_load_dwordx4 v[184:187], v233, s[16:19], 0 offen    // 00000000390C: E05C1000 8004B8E9
	v_mfma_scale_f32_16x16x128_f8f6f4 a[72:75], v[140:143], v[8:11], a[72:75], v208, v200 op_sel_hi:[0,0,0] cbsz:4 blgp:4// 000000003914: D3AC6800 000391D0 D3AD8C48 8522118C
	s_cselect_b32 s69, s69, 0                                  // 000000003924: 85458045
	v_mfma_scale_f32_16x16x128_f8f6f4 a[76:79], v[140:143], v[12:15], a[76:79], v208, v200 op_sel_hi:[0,0,0] cbsz:4 blgp:4// 000000003928: D3AC7800 000391D0 D3AD8C4C 8532198C
	buffer_load_dwordx4 v[188:191], v234, s[16:19], 0 offen    // 000000003938: E05C1000 8004BCEA
	v_mfma_scale_f32_16x16x128_f8f6f4 a[64:67], v[144:147], v[16:19], a[64:67], v208, v200 op_sel_hi:[0,0,0] cbsz:4 blgp:4// 000000003940: D3AC6000 180391D0 D3AD8C40 85022190
	v_mfma_scale_f32_16x16x128_f8f6f4 a[68:71], v[144:147], v[20:23], a[68:71], v208, v200 op_sel_hi:[0,0,0] cbsz:4 blgp:4// 000000003950: D3AC7000 180391D0 D3AD8C44 85122990
	buffer_load_dwordx4 v[192:195], v233, s[16:19], 0 offen offset:1024// 000000003960: E05C1400 8004C0E9
	v_mfma_scale_f32_16x16x128_f8f6f4 a[72:75], v[148:151], v[16:19], a[72:75], v208, v200 op_sel_hi:[0,0,0] cbsz:4 blgp:4// 000000003968: D3AC6800 180391D0 D3AD8C48 85222194
	v_mfma_scale_f32_16x16x128_f8f6f4 a[76:79], v[148:151], v[20:23], a[76:79], v208, v200 op_sel_hi:[0,0,0] cbsz:4 blgp:4// 000000003978: D3AC7800 180391D0 D3AD8C4C 85322994
	buffer_load_dwordx4 v[196:199], v234, s[16:19], 0 offen offset:1024// 000000003988: E05C1400 8004C4EA
	buffer_load_dword v211, v242, s[24:27], 0 offen            // 000000003990: E0501000 8006D3F2
	s_add_u32 s16, s16, s67                                    // 000000003998: 80104310
	s_addc_u32 s17, 0, s17                                     // 00000000399C: 82111180
	s_sub_u32 s18, s18, s67                                    // 0000000039A0: 80924312
	s_add_u32 s24, s24, s69                                    // 0000000039A4: 80184518
	s_addc_u32 s25, 0, s25                                     // 0000000039A8: 82191980
	s_sub_u32 s26, s26, s69                                    // 0000000039AC: 809A451A
	s_add_u32 m0, 0x800, s65                                   // 0000000039B0: 807C41FF 00000800
	buffer_load_dword v217, s[20:23], 0 offen lds              // 0000000039B8: E0511000 800500D9
	s_waitcnt vmcnt(11)                                        // 0000000039C0: BF8C0F7B
	v_mfma_scale_f32_16x16x128_f8f6f4 a[80:83], v[152:155], v[8:11], a[80:83], v209, v200 op_sel_hi:[0,0,0] cbsz:4 blgp:4// 0000000039C4: D3AC6000 000391D1 D3AD8C50 85421198
	v_mfma_scale_f32_16x16x128_f8f6f4 a[84:87], v[152:155], v[12:15], a[84:87], v209, v200 op_sel_hi:[0,0,0] cbsz:4 blgp:4// 0000000039D4: D3AC7000 000391D1 D3AD8C54 85521998
	s_add_u32 m0, 0x2100, s64                                  // 0000000039E4: 807C40FF 00002100
	buffer_load_dwordx4 v212, s[12:15], 0 offen lds            // 0000000039EC: E05D1000 800300D4
	v_mfma_scale_f32_16x16x128_f8f6f4 a[88:91], v[156:159], v[8:11], a[88:91], v209, v200 op_sel_hi:[0,0,0] cbsz:4 blgp:4// 0000000039F4: D3AC4800 000391D1 D3AD8C58 8562119C
	s_add_u32 s62, 0x300, s60                                  // 000000003A04: 803E3CFF 00000300
	s_cmp_lt_u32 s62, s61                                      // 000000003A0C: BF0A3D3E
	v_mfma_scale_f32_16x16x128_f8f6f4 a[92:95], v[156:159], v[12:15], a[92:95], v209, v200 op_sel_hi:[0,0,0] cbsz:4 blgp:4// 000000003A10: D3AC7800 000391D1 D3AD8C5C 8572199C
	s_cselect_b32 s66, s66, 0                                  // 000000003A20: 85428042
	buffer_load_dwordx4 v[72:75], v219, s[16:19], 0 offen      // 000000003A24: E05C1000 800448DB
	v_mfma_scale_f32_16x16x128_f8f6f4 a[80:83], v[160:163], v[16:19], a[80:83], v209, v200 op_sel_hi:[0,0,0] cbsz:4 blgp:4// 000000003A2C: D3AC6000 180391D1 D3AD8C50 854221A0
	s_cselect_b32 s68, s68, 0                                  // 000000003A3C: 85448044
	s_add_u32 s12, s12, s66                                    // 000000003A40: 800C420C
	v_mfma_scale_f32_16x16x128_f8f6f4 a[84:87], v[160:163], v[20:23], a[84:87], v209, v200 op_sel_hi:[0,0,0] cbsz:4 blgp:4// 000000003A44: D3AC7000 180391D1 D3AD8C54 855229A0
	s_addc_u32 s13, 0, s13                                     // 000000003A54: 820D0D80
	buffer_load_dwordx4 v[76:79], v220, s[16:19], 0 offen      // 000000003A58: E05C1000 80044CDC
	v_mfma_scale_f32_16x16x128_f8f6f4 a[88:91], v[164:167], v[16:19], a[88:91], v209, v200 op_sel_hi:[0,0,0] cbsz:4 blgp:4// 000000003A60: D3AC6800 180391D1 D3AD8C58 856221A4
	s_sub_u32 s14, s14, s66                                    // 000000003A70: 808E420E
	s_add_u32 s20, s20, s68                                    // 000000003A74: 80144414
	v_mfma_scale_f32_16x16x128_f8f6f4 a[92:95], v[164:167], v[20:23], a[92:95], v209, v200 op_sel_hi:[0,0,0] cbsz:4 blgp:4// 000000003A78: D3AC7800 180391D1 D3AD8C5C 857229A4
	s_addc_u32 s21, 0, s21                                     // 000000003A88: 82151580
	buffer_load_dwordx4 v[80:83], v219, s[16:19], 0 offen offset:1024// 000000003A8C: E05C1400 800450DB
	s_sub_u32 s22, s22, s68                                    // 000000003A94: 80964416
	buffer_load_dwordx4 v[84:87], v220, s[16:19], 0 offen offset:1024// 000000003A98: E05C1400 800454DC
	buffer_load_dword v204, v235, s[24:27], 0 offen            // 000000003AA0: E0501000 8006CCEB
	s_waitcnt vmcnt(12)                                        // 000000003AA8: BF8C0F7C
	v_mfma_scale_f32_16x16x128_f8f6f4 a[96:99], v[168:171], v[8:11], a[96:99], v210, v200 op_sel_hi:[0,0,0] cbsz:4 blgp:4// 000000003AAC: D3AC6000 000391D2 D3AD8C60 858211A8
	v_mfma_scale_f32_16x16x128_f8f6f4 a[100:103], v[168:171], v[12:15], a[100:103], v210, v200 op_sel_hi:[0,0,0] cbsz:4 blgp:4// 000000003ABC: D3AC7000 000391D2 D3AD8C64 859219A8
	buffer_load_dwordx4 v[88:91], v221, s[16:19], 0 offen      // 000000003ACC: E05C1000 800458DD
	v_mfma_scale_f32_16x16x128_f8f6f4 a[104:107], v[172:175], v[8:11], a[104:107], v210, v200 op_sel_hi:[0,0,0] cbsz:4 blgp:4// 000000003AD4: D3AC6800 000391D2 D3AD8C68 85A211AC
	v_mfma_scale_f32_16x16x128_f8f6f4 a[108:111], v[172:175], v[12:15], a[108:111], v210, v200 op_sel_hi:[0,0,0] cbsz:4 blgp:4// 000000003AE4: D3AC7800 000391D2 D3AD8C6C 85B219AC
	buffer_load_dwordx4 v[92:95], v222, s[16:19], 0 offen      // 000000003AF4: E05C1000 80045CDE
	v_mfma_scale_f32_16x16x128_f8f6f4 a[96:99], v[176:179], v[16:19], a[96:99], v210, v200 op_sel_hi:[0,0,0] cbsz:4 blgp:4// 000000003AFC: D3AC6000 180391D2 D3AD8C60 858221B0
	v_mfma_scale_f32_16x16x128_f8f6f4 a[100:103], v[176:179], v[20:23], a[100:103], v210, v200 op_sel_hi:[0,0,0] cbsz:4 blgp:4// 000000003B0C: D3AC7000 180391D2 D3AD8C64 859229B0
	buffer_load_dwordx4 v[96:99], v221, s[16:19], 0 offen offset:1024// 000000003B1C: E05C1400 800460DD
	v_mfma_scale_f32_16x16x128_f8f6f4 a[104:107], v[180:183], v[16:19], a[104:107], v210, v200 op_sel_hi:[0,0,0] cbsz:4 blgp:4// 000000003B24: D3AC6800 180391D2 D3AD8C68 85A221B4
	v_mfma_scale_f32_16x16x128_f8f6f4 a[108:111], v[180:183], v[20:23], a[108:111], v210, v200 op_sel_hi:[0,0,0] cbsz:4 blgp:4// 000000003B34: D3AC7800 180391D2 D3AD8C6C 85B229B4
	buffer_load_dwordx4 v[100:103], v222, s[16:19], 0 offen offset:1024// 000000003B44: E05C1400 800464DE
	buffer_load_dword v205, v236, s[24:27], 0 offen            // 000000003B4C: E0501000 8006CDEC
	s_waitcnt vmcnt(10)                                        // 000000003B54: BF8C0F7A
	s_barrier                                                  // 000000003B58: BF8A0000
	v_mfma_scale_f32_16x16x128_f8f6f4 a[112:115], v[184:187], v[8:11], a[112:115], v211, v200 op_sel_hi:[0,0,0] cbsz:4 blgp:4// 000000003B5C: D3AC6000 000391D3 D3AD8C70 85C211B8
	s_addk_i32 s60, 0x100                                      // 000000003B6C: B73C0100
	ds_read_b128 v[40:43], v215                                // 000000003B70: D9FE0000 280000D7
	v_mfma_scale_f32_16x16x128_f8f6f4 a[116:119], v[184:187], v[12:15], a[116:119], v211, v200 op_sel_hi:[0,0,0] cbsz:4 blgp:4// 000000003B78: D3AC7000 000391D3 D3AD8C74 85D219B8
	s_cmp_lt_i32 s60, s61                                      // 000000003B88: BF043D3C
	buffer_load_dwordx4 v[104:107], v223, s[16:19], 0 offen    // 000000003B8C: E05C1000 800468DF
	v_mfma_scale_f32_16x16x128_f8f6f4 a[120:123], v[188:191], v[8:11], a[120:123], v211, v200 op_sel_hi:[0,0,0] cbsz:4 blgp:4// 000000003B94: D3AC6800 000391D3 D3AD8C78 85E211BC
	ds_read_b128 v[48:51], v215 offset:64                      // 000000003BA4: D9FE0040 300000D7
	v_mfma_scale_f32_16x16x128_f8f6f4 a[124:127], v[188:191], v[12:15], a[124:127], v211, v200 op_sel_hi:[0,0,0] cbsz:4 blgp:4// 000000003BAC: D3AC7800 000391D3 D3AD8C7C 85F219BC
	buffer_load_dwordx4 v[108:111], v224, s[16:19], 0 offen    // 000000003BBC: E05C1000 80046CE0
	v_mfma_scale_f32_16x16x128_f8f6f4 a[112:115], v[192:195], v[16:19], a[112:115], v211, v200 op_sel_hi:[0,0,0] cbsz:4 blgp:4// 000000003BC4: D3AC6000 180391D3 D3AD8C70 85C221C0
	ds_read_b128 v[44:47], v215 offset:512                     // 000000003BD4: D9FE0200 2C0000D7
	v_mfma_scale_f32_16x16x128_f8f6f4 a[116:119], v[192:195], v[20:23], a[116:119], v211, v200 op_sel_hi:[0,0,0] cbsz:4 blgp:4// 000000003BDC: D3AC7000 180391D3 D3AD8C74 85D229C0
	buffer_load_dwordx4 v[112:115], v223, s[16:19], 0 offen offset:1024// 000000003BEC: E05C1400 800470DF
	v_mfma_scale_f32_16x16x128_f8f6f4 a[120:123], v[196:199], v[16:19], a[120:123], v211, v200 op_sel_hi:[0,0,0] cbsz:4 blgp:4// 000000003BF4: D3AC6800 180391D3 D3AD8C78 85E221C4
	ds_read_b128 v[52:55], v215 offset:576                     // 000000003C04: D9FE0240 340000D7
	v_mfma_scale_f32_16x16x128_f8f6f4 a[124:127], v[196:199], v[20:23], a[124:127], v211, v200 op_sel_hi:[0,0,0] cbsz:4 blgp:4// 000000003C0C: D3AC7800 180391D3 D3AD8C7C 85F229C4
	buffer_load_dwordx4 v[116:119], v224, s[16:19], 0 offen offset:1024// 000000003C1C: E05C1400 800474E0
	ds_read_b32 v202, v218 offset:2048                         // 000000003C24: D86C0800 CA0000DA
	buffer_load_dword v206, v237, s[24:27], 0 offen            // 000000003C2C: E0501000 8006CEED
	s_cbranch_scc0 label_0EA8                                  // 000000003C34: BF840A9A
	s_waitcnt vmcnt(10) lgkmcnt(5)                             // 000000003C38: BF8C057A
	v_mfma_scale_f32_16x16x128_f8f6f4 a[0:3], v[72:75], v[24:27], a[0:3], v204, v201 op_sel_hi:[0,0,0] cbsz:4 blgp:4// 000000003C3C: D3AC6000 000393CC D3AD8C00 84023148
	v_mfma_scale_f32_16x16x128_f8f6f4 a[4:7], v[72:75], v[28:31], a[4:7], v204, v201 op_sel_hi:[0,0,0] cbsz:4 blgp:4// 000000003C4C: D3AC7000 000393CC D3AD8C04 84123948
	buffer_load_dwordx4 v[120:123], v225, s[16:19], 0 offen    // 000000003C5C: E05C1000 800478E1
	v_mfma_scale_f32_16x16x128_f8f6f4 a[8:11], v[76:79], v[24:27], a[8:11], v204, v201 op_sel_hi:[0,0,0] cbsz:4 blgp:4// 000000003C64: D3AC6800 000393CC D3AD8C08 8422314C
	v_mfma_scale_f32_16x16x128_f8f6f4 a[12:15], v[76:79], v[28:31], a[12:15], v204, v201 op_sel_hi:[0,0,0] cbsz:4 blgp:4// 000000003C74: D3AC7800 000393CC D3AD8C0C 8432394C
	buffer_load_dwordx4 v[124:127], v226, s[16:19], 0 offen    // 000000003C84: E05C1000 80047CE2
	v_mfma_scale_f32_16x16x128_f8f6f4 a[0:3], v[80:83], v[32:35], a[0:3], v204, v201 op_sel_hi:[0,0,0] cbsz:4 blgp:4// 000000003C8C: D3AC6000 180393CC D3AD8C00 84024150
	v_mfma_scale_f32_16x16x128_f8f6f4 a[4:7], v[80:83], v[36:39], a[4:7], v204, v201 op_sel_hi:[0,0,0] cbsz:4 blgp:4// 000000003C9C: D3AC7000 180393CC D3AD8C04 84124950
	buffer_load_dwordx4 v[128:131], v225, s[16:19], 0 offen offset:1024// 000000003CAC: E05C1400 800480E1
	v_mfma_scale_f32_16x16x128_f8f6f4 a[8:11], v[84:87], v[32:35], a[8:11], v204, v201 op_sel_hi:[0,0,0] cbsz:4 blgp:4// 000000003CB4: D3AC6800 180393CC D3AD8C08 84224154
	v_mfma_scale_f32_16x16x128_f8f6f4 a[12:15], v[84:87], v[36:39], a[12:15], v204, v201 op_sel_hi:[0,0,0] cbsz:4 blgp:4// 000000003CC4: D3AC7800 180393CC D3AD8C0C 84324954
	buffer_load_dwordx4 v[132:135], v226, s[16:19], 0 offen offset:1024// 000000003CD4: E05C1400 800484E2
	buffer_load_dword v207, v238, s[24:27], 0 offen            // 000000003CDC: E0501000 8006CFEE
	s_waitcnt vmcnt(10)                                        // 000000003CE4: BF8C0F7A
	v_mfma_scale_f32_16x16x128_f8f6f4 a[16:19], v[88:91], v[24:27], a[16:19], v205, v201 op_sel_hi:[0,0,0] cbsz:4 blgp:4// 000000003CE8: D3AC6000 000393CD D3AD8C10 84423158
	v_mfma_scale_f32_16x16x128_f8f6f4 a[20:23], v[88:91], v[28:31], a[20:23], v205, v201 op_sel_hi:[0,0,0] cbsz:4 blgp:4// 000000003CF8: D3AC5000 000393CD D3AD8C14 84523958
	buffer_load_dwordx4 v[136:139], v227, s[16:19], 0 offen    // 000000003D08: E05C1000 800488E3
	v_mfma_scale_f32_16x16x128_f8f6f4 a[24:27], v[92:95], v[24:27], a[24:27], v205, v201 op_sel_hi:[0,0,0] cbsz:4 blgp:4// 000000003D10: D3AC6800 000393CD D3AD8C18 8462315C
	v_mfma_scale_f32_16x16x128_f8f6f4 a[28:31], v[92:95], v[28:31], a[28:31], v205, v201 op_sel_hi:[0,0,0] cbsz:4 blgp:4// 000000003D20: D3AC5800 000393CD D3AD8C1C 8472395C
	buffer_load_dwordx4 v[140:143], v228, s[16:19], 0 offen    // 000000003D30: E05C1000 80048CE4
	v_mfma_scale_f32_16x16x128_f8f6f4 a[16:19], v[96:99], v[32:35], a[16:19], v205, v201 op_sel_hi:[0,0,0] cbsz:4 blgp:4// 000000003D38: D3AC6000 180393CD D3AD8C10 84424160
	v_mfma_scale_f32_16x16x128_f8f6f4 a[20:23], v[96:99], v[36:39], a[20:23], v205, v201 op_sel_hi:[0,0,0] cbsz:4 blgp:4// 000000003D48: D3AC5000 180393CD D3AD8C14 84524960
	buffer_load_dwordx4 v[144:147], v227, s[16:19], 0 offen offset:1024// 000000003D58: E05C1400 800490E3
	v_mfma_scale_f32_16x16x128_f8f6f4 a[24:27], v[100:103], v[32:35], a[24:27], v205, v201 op_sel_hi:[0,0,0] cbsz:4 blgp:4// 000000003D60: D3AC6800 180393CD D3AD8C18 84624164
	v_mfma_scale_f32_16x16x128_f8f6f4 a[28:31], v[100:103], v[36:39], a[28:31], v205, v201 op_sel_hi:[0,0,0] cbsz:4 blgp:4// 000000003D70: D3AC5800 180393CD D3AD8C1C 84724964
	buffer_load_dwordx4 v[148:151], v228, s[16:19], 0 offen offset:1024// 000000003D80: E05C1400 800494E4
	buffer_load_dword v208, v239, s[24:27], 0 offen            // 000000003D88: E0501000 8006D0EF
	s_waitcnt vmcnt(10)                                        // 000000003D90: BF8C0F7A
	v_mfma_scale_f32_16x16x128_f8f6f4 a[32:35], v[104:107], v[24:27], a[32:35], v206, v201 op_sel_hi:[0,0,0] cbsz:4 blgp:4// 000000003D94: D3AC6000 000393CE D3AD8C20 84823168
	v_mfma_scale_f32_16x16x128_f8f6f4 a[36:39], v[104:107], v[28:31], a[36:39], v206, v201 op_sel_hi:[0,0,0] cbsz:4 blgp:4// 000000003DA4: D3AC7000 000393CE D3AD8C24 84923968
	buffer_load_dwordx4 v[152:155], v229, s[16:19], 0 offen    // 000000003DB4: E05C1000 800498E5
	v_mfma_scale_f32_16x16x128_f8f6f4 a[40:43], v[108:111], v[24:27], a[40:43], v206, v201 op_sel_hi:[0,0,0] cbsz:4 blgp:4// 000000003DBC: D3AC6800 000393CE D3AD8C28 84A2316C
	v_mfma_scale_f32_16x16x128_f8f6f4 a[44:47], v[108:111], v[28:31], a[44:47], v206, v201 op_sel_hi:[0,0,0] cbsz:4 blgp:4// 000000003DCC: D3AC5800 000393CE D3AD8C2C 84B2396C
	buffer_load_dwordx4 v[156:159], v230, s[16:19], 0 offen    // 000000003DDC: E05C1000 80049CE6
	v_mfma_scale_f32_16x16x128_f8f6f4 a[32:35], v[112:115], v[32:35], a[32:35], v206, v201 op_sel_hi:[0,0,0] cbsz:4 blgp:4// 000000003DE4: D3AC6000 180393CE D3AD8C20 84824170
	v_mfma_scale_f32_16x16x128_f8f6f4 a[36:39], v[112:115], v[36:39], a[36:39], v206, v201 op_sel_hi:[0,0,0] cbsz:4 blgp:4// 000000003DF4: D3AC5000 180393CE D3AD8C24 84924970
	buffer_load_dwordx4 v[160:163], v229, s[16:19], 0 offen offset:1024// 000000003E04: E05C1400 8004A0E5
	v_mfma_scale_f32_16x16x128_f8f6f4 a[40:43], v[116:119], v[32:35], a[40:43], v206, v201 op_sel_hi:[0,0,0] cbsz:4 blgp:4// 000000003E0C: D3AC6800 180393CE D3AD8C28 84A24174
	v_mfma_scale_f32_16x16x128_f8f6f4 a[44:47], v[116:119], v[36:39], a[44:47], v206, v201 op_sel_hi:[0,0,0] cbsz:4 blgp:4// 000000003E1C: D3AC7800 180393CE D3AD8C2C 84B24974
	buffer_load_dwordx4 v[164:167], v230, s[16:19], 0 offen offset:1024// 000000003E2C: E05C1400 8004A4E6
	buffer_load_dword v209, v240, s[24:27], 0 offen            // 000000003E34: E0501000 8006D1F0
	s_waitcnt vmcnt(10)                                        // 000000003E3C: BF8C0F7A
	v_mfma_scale_f32_16x16x128_f8f6f4 a[48:51], v[120:123], v[24:27], a[48:51], v207, v201 op_sel_hi:[0,0,0] cbsz:4 blgp:4// 000000003E40: D3AC6000 000393CF D3AD8C30 84C23178
	v_mfma_scale_f32_16x16x128_f8f6f4 a[52:55], v[120:123], v[28:31], a[52:55], v207, v201 op_sel_hi:[0,0,0] cbsz:4 blgp:4// 000000003E50: D3AC7000 000393CF D3AD8C34 84D23978
	buffer_load_dwordx4 v[168:171], v231, s[16:19], 0 offen    // 000000003E60: E05C1000 8004A8E7
	v_mfma_scale_f32_16x16x128_f8f6f4 a[56:59], v[124:127], v[24:27], a[56:59], v207, v201 op_sel_hi:[0,0,0] cbsz:4 blgp:4// 000000003E68: D3AC6800 000393CF D3AD8C38 84E2317C
	v_mfma_scale_f32_16x16x128_f8f6f4 a[60:63], v[124:127], v[28:31], a[60:63], v207, v201 op_sel_hi:[0,0,0] cbsz:4 blgp:4// 000000003E78: D3AC7800 000393CF D3AD8C3C 84F2397C
	buffer_load_dwordx4 v[172:175], v232, s[16:19], 0 offen    // 000000003E88: E05C1000 8004ACE8
	v_mfma_scale_f32_16x16x128_f8f6f4 a[48:51], v[128:131], v[32:35], a[48:51], v207, v201 op_sel_hi:[0,0,0] cbsz:4 blgp:4// 000000003E90: D3AC6000 180393CF D3AD8C30 84C24180
	v_mfma_scale_f32_16x16x128_f8f6f4 a[52:55], v[128:131], v[36:39], a[52:55], v207, v201 op_sel_hi:[0,0,0] cbsz:4 blgp:4// 000000003EA0: D3AC7000 180393CF D3AD8C34 84D24980
	buffer_load_dwordx4 v[176:179], v231, s[16:19], 0 offen offset:1024// 000000003EB0: E05C1400 8004B0E7
	v_mfma_scale_f32_16x16x128_f8f6f4 a[56:59], v[132:135], v[32:35], a[56:59], v207, v201 op_sel_hi:[0,0,0] cbsz:4 blgp:4// 000000003EB8: D3AC6800 180393CF D3AD8C38 84E24184
	v_mfma_scale_f32_16x16x128_f8f6f4 a[60:63], v[132:135], v[36:39], a[60:63], v207, v201 op_sel_hi:[0,0,0] cbsz:4 blgp:4// 000000003EC8: D3AC7800 180393CF D3AD8C3C 84F24984
	buffer_load_dwordx4 v[180:183], v232, s[16:19], 0 offen offset:1024// 000000003ED8: E05C1400 8004B4E8
	buffer_load_dword v210, v241, s[24:27], 0 offen            // 000000003EE0: E0501000 8006D2F1
	s_waitcnt vmcnt(10)                                        // 000000003EE8: BF8C0F7A
	v_mfma_scale_f32_16x16x128_f8f6f4 a[64:67], v[136:139], v[24:27], a[64:67], v208, v201 op_sel_hi:[0,0,0] cbsz:4 blgp:4// 000000003EEC: D3AC6000 000393D0 D3AD8C40 85023188
	s_add_u32 s63, 0x100, s60                                  // 000000003EFC: 803F3CFF 00000100
	s_cmp_lt_u32 s63, s61                                      // 000000003F04: BF0A3D3F
	v_mfma_scale_f32_16x16x128_f8f6f4 a[68:71], v[136:139], v[28:31], a[68:71], v208, v201 op_sel_hi:[0,0,0] cbsz:4 blgp:4// 000000003F08: D3AC7000 000393D0 D3AD8C44 85123988
	s_cselect_b32 s67, s67, 0                                  // 000000003F18: 85438043
	buffer_load_dwordx4 v[184:187], v233, s[16:19], 0 offen    // 000000003F1C: E05C1000 8004B8E9
	v_mfma_scale_f32_16x16x128_f8f6f4 a[72:75], v[140:143], v[24:27], a[72:75], v208, v201 op_sel_hi:[0,0,0] cbsz:4 blgp:4// 000000003F24: D3AC6800 000393D0 D3AD8C48 8522318C
	s_cselect_b32 s69, s69, 0                                  // 000000003F34: 85458045
	v_mfma_scale_f32_16x16x128_f8f6f4 a[76:79], v[140:143], v[28:31], a[76:79], v208, v201 op_sel_hi:[0,0,0] cbsz:4 blgp:4// 000000003F38: D3AC7800 000393D0 D3AD8C4C 8532398C
	buffer_load_dwordx4 v[188:191], v234, s[16:19], 0 offen    // 000000003F48: E05C1000 8004BCEA
	v_mfma_scale_f32_16x16x128_f8f6f4 a[64:67], v[144:147], v[32:35], a[64:67], v208, v201 op_sel_hi:[0,0,0] cbsz:4 blgp:4// 000000003F50: D3AC6000 180393D0 D3AD8C40 85024190
	v_mfma_scale_f32_16x16x128_f8f6f4 a[68:71], v[144:147], v[36:39], a[68:71], v208, v201 op_sel_hi:[0,0,0] cbsz:4 blgp:4// 000000003F60: D3AC7000 180393D0 D3AD8C44 85124990
	buffer_load_dwordx4 v[192:195], v233, s[16:19], 0 offen offset:1024// 000000003F70: E05C1400 8004C0E9
	v_mfma_scale_f32_16x16x128_f8f6f4 a[72:75], v[148:151], v[32:35], a[72:75], v208, v201 op_sel_hi:[0,0,0] cbsz:4 blgp:4// 000000003F78: D3AC6800 180393D0 D3AD8C48 85224194
	v_mfma_scale_f32_16x16x128_f8f6f4 a[76:79], v[148:151], v[36:39], a[76:79], v208, v201 op_sel_hi:[0,0,0] cbsz:4 blgp:4// 000000003F88: D3AC7800 180393D0 D3AD8C4C 85324994
	buffer_load_dwordx4 v[196:199], v234, s[16:19], 0 offen offset:1024// 000000003F98: E05C1400 8004C4EA
	buffer_load_dword v211, v242, s[24:27], 0 offen            // 000000003FA0: E0501000 8006D3F2
	s_add_u32 s16, s16, s67                                    // 000000003FA8: 80104310
	s_addc_u32 s17, 0, s17                                     // 000000003FAC: 82111180
	s_sub_u32 s18, s18, s67                                    // 000000003FB0: 80924312
	s_add_u32 s24, s24, s69                                    // 000000003FB4: 80184518
	s_addc_u32 s25, 0, s25                                     // 000000003FB8: 82191980
	s_sub_u32 s26, s26, s69                                    // 000000003FBC: 809A451A
	s_add_u32 m0, 0xc00, s65                                   // 000000003FC0: 807C41FF 00000C00
	buffer_load_dword v217, s[20:23], 0 offen lds              // 000000003FC8: E0511000 800500D9
	s_waitcnt vmcnt(11)                                        // 000000003FD0: BF8C0F7B
	v_mfma_scale_f32_16x16x128_f8f6f4 a[80:83], v[152:155], v[24:27], a[80:83], v209, v201 op_sel_hi:[0,0,0] cbsz:4 blgp:4// 000000003FD4: D3AC6000 000393D1 D3AD8C50 85423198
	v_mfma_scale_f32_16x16x128_f8f6f4 a[84:87], v[152:155], v[28:31], a[84:87], v209, v201 op_sel_hi:[0,0,0] cbsz:4 blgp:4// 000000003FE4: D3AC7000 000393D1 D3AD8C54 85523998
	s_add_u32 m0, 0x3180, s64                                  // 000000003FF4: 807C40FF 00003180
	buffer_load_dwordx4 v212, s[12:15], 0 offen lds            // 000000003FFC: E05D1000 800300D4
	v_mfma_scale_f32_16x16x128_f8f6f4 a[88:91], v[156:159], v[24:27], a[88:91], v209, v201 op_sel_hi:[0,0,0] cbsz:4 blgp:4// 000000004004: D3AC6800 000393D1 D3AD8C58 8562319C
	s_add_u32 s62, 0x300, s60                                  // 000000004014: 803E3CFF 00000300
	s_cmp_lt_u32 s62, s61                                      // 00000000401C: BF0A3D3E
	v_mfma_scale_f32_16x16x128_f8f6f4 a[92:95], v[156:159], v[28:31], a[92:95], v209, v201 op_sel_hi:[0,0,0] cbsz:4 blgp:4// 000000004020: D3AC7800 000393D1 D3AD8C5C 8572399C
	s_cselect_b32 s66, s66, 0                                  // 000000004030: 85428042
	buffer_load_dwordx4 v[72:75], v219, s[16:19], 0 offen      // 000000004034: E05C1000 800448DB
	v_mfma_scale_f32_16x16x128_f8f6f4 a[80:83], v[160:163], v[32:35], a[80:83], v209, v201 op_sel_hi:[0,0,0] cbsz:4 blgp:4// 00000000403C: D3AC6000 180393D1 D3AD8C50 854241A0
	s_cselect_b32 s68, s68, 0                                  // 00000000404C: 85448044
	s_add_u32 s12, s12, s66                                    // 000000004050: 800C420C
	v_mfma_scale_f32_16x16x128_f8f6f4 a[84:87], v[160:163], v[36:39], a[84:87], v209, v201 op_sel_hi:[0,0,0] cbsz:4 blgp:4// 000000004054: D3AC7000 180393D1 D3AD8C54 855249A0
	s_addc_u32 s13, 0, s13                                     // 000000004064: 820D0D80
	buffer_load_dwordx4 v[76:79], v220, s[16:19], 0 offen      // 000000004068: E05C1000 80044CDC
	v_mfma_scale_f32_16x16x128_f8f6f4 a[88:91], v[164:167], v[32:35], a[88:91], v209, v201 op_sel_hi:[0,0,0] cbsz:4 blgp:4// 000000004070: D3AC6800 180393D1 D3AD8C58 856241A4
	s_sub_u32 s14, s14, s66                                    // 000000004080: 808E420E
	s_add_u32 s20, s20, s68                                    // 000000004084: 80144414
	v_mfma_scale_f32_16x16x128_f8f6f4 a[92:95], v[164:167], v[36:39], a[92:95], v209, v201 op_sel_hi:[0,0,0] cbsz:4 blgp:4// 000000004088: D3AC3800 180393D1 D3AD8C5C 857249A4
	s_addc_u32 s21, 0, s21                                     // 000000004098: 82151580
	buffer_load_dwordx4 v[80:83], v219, s[16:19], 0 offen offset:1024// 00000000409C: E05C1400 800450DB
	s_sub_u32 s22, s22, s68                                    // 0000000040A4: 80964416
	buffer_load_dwordx4 v[84:87], v220, s[16:19], 0 offen offset:1024// 0000000040A8: E05C1400 800454DC
	buffer_load_dword v204, v235, s[24:27], 0 offen            // 0000000040B0: E0501000 8006CCEB
	s_waitcnt vmcnt(12)                                        // 0000000040B8: BF8C0F7C
	v_mfma_scale_f32_16x16x128_f8f6f4 a[96:99], v[168:171], v[24:27], a[96:99], v210, v201 op_sel_hi:[0,0,0] cbsz:4 blgp:4// 0000000040BC: D3AC6000 000393D2 D3AD8C60 858231A8
	v_mfma_scale_f32_16x16x128_f8f6f4 a[100:103], v[168:171], v[28:31], a[100:103], v210, v201 op_sel_hi:[0,0,0] cbsz:4 blgp:4// 0000000040CC: D3AC5000 000393D2 D3AD8C64 859239A8
	buffer_load_dwordx4 v[88:91], v221, s[16:19], 0 offen      // 0000000040DC: E05C1000 800458DD
	v_mfma_scale_f32_16x16x128_f8f6f4 a[104:107], v[172:175], v[24:27], a[104:107], v210, v201 op_sel_hi:[0,0,0] cbsz:4 blgp:4// 0000000040E4: D3AC6800 000393D2 D3AD8C68 85A231AC
	v_mfma_scale_f32_16x16x128_f8f6f4 a[108:111], v[172:175], v[28:31], a[108:111], v210, v201 op_sel_hi:[0,0,0] cbsz:4 blgp:4// 0000000040F4: D3AC7800 000393D2 D3AD8C6C 85B239AC
	buffer_load_dwordx4 v[92:95], v222, s[16:19], 0 offen      // 000000004104: E05C1000 80045CDE
	v_mfma_scale_f32_16x16x128_f8f6f4 a[96:99], v[176:179], v[32:35], a[96:99], v210, v201 op_sel_hi:[0,0,0] cbsz:4 blgp:4// 00000000410C: D3AC6000 180393D2 D3AD8C60 858241B0
	v_mfma_scale_f32_16x16x128_f8f6f4 a[100:103], v[176:179], v[36:39], a[100:103], v210, v201 op_sel_hi:[0,0,0] cbsz:4 blgp:4// 00000000411C: D3AC7000 180393D2 D3AD8C64 859249B0
	buffer_load_dwordx4 v[96:99], v221, s[16:19], 0 offen offset:1024// 00000000412C: E05C1400 800460DD
	v_mfma_scale_f32_16x16x128_f8f6f4 a[104:107], v[180:183], v[32:35], a[104:107], v210, v201 op_sel_hi:[0,0,0] cbsz:4 blgp:4// 000000004134: D3AC6800 180393D2 D3AD8C68 85A241B4
	v_mfma_scale_f32_16x16x128_f8f6f4 a[108:111], v[180:183], v[36:39], a[108:111], v210, v201 op_sel_hi:[0,0,0] cbsz:4 blgp:4// 000000004144: D3AC7800 180393D2 D3AD8C6C 85B249B4
	buffer_load_dwordx4 v[100:103], v222, s[16:19], 0 offen offset:1024// 000000004154: E05C1400 800464DE
	buffer_load_dword v205, v236, s[24:27], 0 offen            // 00000000415C: E0501000 8006CDEC
	s_waitcnt vmcnt(10)                                        // 000000004164: BF8C0F7A
	s_barrier                                                  // 000000004168: BF8A0000
	v_mfma_scale_f32_16x16x128_f8f6f4 a[112:115], v[184:187], v[24:27], a[112:115], v211, v201 op_sel_hi:[0,0,0] cbsz:4 blgp:4// 00000000416C: D3AC6000 000393D3 D3AD8C70 85C231B8
	s_addk_i32 s60, 0x100                                      // 00000000417C: B73C0100
	ds_read_b128 v[56:59], v216                                // 000000004180: D9FE0000 380000D8
	v_mfma_scale_f32_16x16x128_f8f6f4 a[116:119], v[184:187], v[28:31], a[116:119], v211, v201 op_sel_hi:[0,0,0] cbsz:4 blgp:4// 000000004188: D3AC7000 000393D3 D3AD8C74 85D239B8
	s_cmp_lt_i32 s60, s61                                      // 000000004198: BF043D3C
	buffer_load_dwordx4 v[104:107], v223, s[16:19], 0 offen    // 00000000419C: E05C1000 800468DF
	v_mfma_scale_f32_16x16x128_f8f6f4 a[120:123], v[188:191], v[24:27], a[120:123], v211, v201 op_sel_hi:[0,0,0] cbsz:4 blgp:4// 0000000041A4: D3AC6800 000393D3 D3AD8C78 85E231BC
	ds_read_b128 v[64:67], v216 offset:64                      // 0000000041B4: D9FE0040 400000D8
	v_mfma_scale_f32_16x16x128_f8f6f4 a[124:127], v[188:191], v[28:31], a[124:127], v211, v201 op_sel_hi:[0,0,0] cbsz:4 blgp:4// 0000000041BC: D3AC7800 000393D3 D3AD8C7C 85F239BC
	buffer_load_dwordx4 v[108:111], v224, s[16:19], 0 offen    // 0000000041CC: E05C1000 80046CE0
	v_mfma_scale_f32_16x16x128_f8f6f4 a[112:115], v[192:195], v[32:35], a[112:115], v211, v201 op_sel_hi:[0,0,0] cbsz:4 blgp:4// 0000000041D4: D3AC6000 180393D3 D3AD8C70 85C241C0
	ds_read_b128 v[60:63], v216 offset:512                     // 0000000041E4: D9FE0200 3C0000D8
	v_mfma_scale_f32_16x16x128_f8f6f4 a[116:119], v[192:195], v[36:39], a[116:119], v211, v201 op_sel_hi:[0,0,0] cbsz:4 blgp:4// 0000000041EC: D3AC7000 180393D3 D3AD8C74 85D249C0
	buffer_load_dwordx4 v[112:115], v223, s[16:19], 0 offen offset:1024// 0000000041FC: E05C1400 800470DF
	v_mfma_scale_f32_16x16x128_f8f6f4 a[120:123], v[196:199], v[32:35], a[120:123], v211, v201 op_sel_hi:[0,0,0] cbsz:4 blgp:4// 000000004204: D3AC6800 180393D3 D3AD8C78 85E241C4
	ds_read_b128 v[68:71], v216 offset:576                     // 000000004214: D9FE0240 440000D8
	v_mfma_scale_f32_16x16x128_f8f6f4 a[124:127], v[196:199], v[36:39], a[124:127], v211, v201 op_sel_hi:[0,0,0] cbsz:4 blgp:4// 00000000421C: D3AC7800 180393D3 D3AD8C7C 85F249C4
	buffer_load_dwordx4 v[116:119], v224, s[16:19], 0 offen offset:1024// 00000000422C: E05C1400 800474E0
	ds_read_b32 v203, v218 offset:3072                         // 000000004234: D86C0C00 CB0000DA
	buffer_load_dword v206, v237, s[24:27], 0 offen            // 00000000423C: E0501000 8006CEED
	s_cbranch_scc0 label_0EA8                                  // 000000004244: BF840916
	s_waitcnt vmcnt(10) lgkmcnt(5)                             // 000000004248: BF8C057A
	v_mfma_scale_f32_16x16x128_f8f6f4 a[0:3], v[72:75], v[40:43], a[0:3], v204, v202 op_sel_hi:[0,0,0] cbsz:4 blgp:4// 00000000424C: D3AC6000 000395CC D3AD8C00 84025148
	v_mfma_scale_f32_16x16x128_f8f6f4 a[4:7], v[72:75], v[44:47], a[4:7], v204, v202 op_sel_hi:[0,0,0] cbsz:4 blgp:4// 00000000425C: D3AC7000 000395CC D3AD8C04 84125948
	buffer_load_dwordx4 v[120:123], v225, s[16:19], 0 offen    // 00000000426C: E05C1000 800478E1
	v_mfma_scale_f32_16x16x128_f8f6f4 a[8:11], v[76:79], v[40:43], a[8:11], v204, v202 op_sel_hi:[0,0,0] cbsz:4 blgp:4// 000000004274: D3AC6800 000395CC D3AD8C08 8422514C
	v_mfma_scale_f32_16x16x128_f8f6f4 a[12:15], v[76:79], v[44:47], a[12:15], v204, v202 op_sel_hi:[0,0,0] cbsz:4 blgp:4// 000000004284: D3AC7800 000395CC D3AD8C0C 8432594C
	buffer_load_dwordx4 v[124:127], v226, s[16:19], 0 offen    // 000000004294: E05C1000 80047CE2
	v_mfma_scale_f32_16x16x128_f8f6f4 a[0:3], v[80:83], v[48:51], a[0:3], v204, v202 op_sel_hi:[0,0,0] cbsz:4 blgp:4// 00000000429C: D3AC6000 180395CC D3AD8C00 84026150
	v_mfma_scale_f32_16x16x128_f8f6f4 a[4:7], v[80:83], v[52:55], a[4:7], v204, v202 op_sel_hi:[0,0,0] cbsz:4 blgp:4// 0000000042AC: D3AC7000 180395CC D3AD8C04 84126950
	buffer_load_dwordx4 v[128:131], v225, s[16:19], 0 offen offset:1024// 0000000042BC: E05C1400 800480E1
	v_mfma_scale_f32_16x16x128_f8f6f4 a[8:11], v[84:87], v[48:51], a[8:11], v204, v202 op_sel_hi:[0,0,0] cbsz:4 blgp:4// 0000000042C4: D3AC6800 180395CC D3AD8C08 84226154
	v_mfma_scale_f32_16x16x128_f8f6f4 a[12:15], v[84:87], v[52:55], a[12:15], v204, v202 op_sel_hi:[0,0,0] cbsz:4 blgp:4// 0000000042D4: D3AC7800 180395CC D3AD8C0C 84326954
	buffer_load_dwordx4 v[132:135], v226, s[16:19], 0 offen offset:1024// 0000000042E4: E05C1400 800484E2
	buffer_load_dword v207, v238, s[24:27], 0 offen            // 0000000042EC: E0501000 8006CFEE
	s_waitcnt vmcnt(10)                                        // 0000000042F4: BF8C0F7A
	v_mfma_scale_f32_16x16x128_f8f6f4 a[16:19], v[88:91], v[40:43], a[16:19], v205, v202 op_sel_hi:[0,0,0] cbsz:4 blgp:4// 0000000042F8: D3AC6000 000395CD D3AD8C10 84425158
	v_mfma_scale_f32_16x16x128_f8f6f4 a[20:23], v[88:91], v[44:47], a[20:23], v205, v202 op_sel_hi:[0,0,0] cbsz:4 blgp:4// 000000004308: D3AC7000 000395CD D3AD8C14 84525958
	buffer_load_dwordx4 v[136:139], v227, s[16:19], 0 offen    // 000000004318: E05C1000 800488E3
	v_mfma_scale_f32_16x16x128_f8f6f4 a[24:27], v[92:95], v[40:43], a[24:27], v205, v202 op_sel_hi:[0,0,0] cbsz:4 blgp:4// 000000004320: D3AC6800 000395CD D3AD8C18 8462515C
	v_mfma_scale_f32_16x16x128_f8f6f4 a[28:31], v[92:95], v[44:47], a[28:31], v205, v202 op_sel_hi:[0,0,0] cbsz:4 blgp:4// 000000004330: D3AC7800 000395CD D3AD8C1C 8472595C
	buffer_load_dwordx4 v[140:143], v228, s[16:19], 0 offen    // 000000004340: E05C1000 80048CE4
	v_mfma_scale_f32_16x16x128_f8f6f4 a[16:19], v[96:99], v[48:51], a[16:19], v205, v202 op_sel_hi:[0,0,0] cbsz:4 blgp:4// 000000004348: D3AC6000 180395CD D3AD8C10 84426160
	v_mfma_scale_f32_16x16x128_f8f6f4 a[20:23], v[96:99], v[52:55], a[20:23], v205, v202 op_sel_hi:[0,0,0] cbsz:4 blgp:4// 000000004358: D3AC7000 180395CD D3AD8C14 84526960
	buffer_load_dwordx4 v[144:147], v227, s[16:19], 0 offen offset:1024// 000000004368: E05C1400 800490E3
	v_mfma_scale_f32_16x16x128_f8f6f4 a[24:27], v[100:103], v[48:51], a[24:27], v205, v202 op_sel_hi:[0,0,0] cbsz:4 blgp:4// 000000004370: D3AC6800 180395CD D3AD8C18 84626164
	v_mfma_scale_f32_16x16x128_f8f6f4 a[28:31], v[100:103], v[52:55], a[28:31], v205, v202 op_sel_hi:[0,0,0] cbsz:4 blgp:4// 000000004380: D3AC7800 180395CD D3AD8C1C 84726964
	buffer_load_dwordx4 v[148:151], v228, s[16:19], 0 offen offset:1024// 000000004390: E05C1400 800494E4
	buffer_load_dword v208, v239, s[24:27], 0 offen            // 000000004398: E0501000 8006D0EF
	s_waitcnt vmcnt(10)                                        // 0000000043A0: BF8C0F7A
	v_mfma_scale_f32_16x16x128_f8f6f4 a[32:35], v[104:107], v[40:43], a[32:35], v206, v202 op_sel_hi:[0,0,0] cbsz:4 blgp:4// 0000000043A4: D3AC6000 000395CE D3AD8C20 84825168
	v_mfma_scale_f32_16x16x128_f8f6f4 a[36:39], v[104:107], v[44:47], a[36:39], v206, v202 op_sel_hi:[0,0,0] cbsz:4 blgp:4// 0000000043B4: D3AC7000 000395CE D3AD8C24 84925968
	buffer_load_dwordx4 v[152:155], v229, s[16:19], 0 offen    // 0000000043C4: E05C1000 800498E5
	v_mfma_scale_f32_16x16x128_f8f6f4 a[40:43], v[108:111], v[40:43], a[40:43], v206, v202 op_sel_hi:[0,0,0] cbsz:4 blgp:4// 0000000043CC: D3AC6800 000395CE D3AD8C28 84A2516C
	v_mfma_scale_f32_16x16x128_f8f6f4 a[44:47], v[108:111], v[44:47], a[44:47], v206, v202 op_sel_hi:[0,0,0] cbsz:4 blgp:4// 0000000043DC: D3AC7800 000395CE D3AD8C2C 84B2596C
	buffer_load_dwordx4 v[156:159], v230, s[16:19], 0 offen    // 0000000043EC: E05C1000 80049CE6
	v_mfma_scale_f32_16x16x128_f8f6f4 a[32:35], v[112:115], v[48:51], a[32:35], v206, v202 op_sel_hi:[0,0,0] cbsz:4 blgp:4// 0000000043F4: D3AC6000 180395CE D3AD8C20 84826170
	v_mfma_scale_f32_16x16x128_f8f6f4 a[36:39], v[112:115], v[52:55], a[36:39], v206, v202 op_sel_hi:[0,0,0] cbsz:4 blgp:4// 000000004404: D3AC7000 180395CE D3AD8C24 84926970
	buffer_load_dwordx4 v[160:163], v229, s[16:19], 0 offen offset:1024// 000000004414: E05C1400 8004A0E5
	v_mfma_scale_f32_16x16x128_f8f6f4 a[40:43], v[116:119], v[48:51], a[40:43], v206, v202 op_sel_hi:[0,0,0] cbsz:4 blgp:4// 00000000441C: D3AC6800 180395CE D3AD8C28 84A26174
	v_mfma_scale_f32_16x16x128_f8f6f4 a[44:47], v[116:119], v[52:55], a[44:47], v206, v202 op_sel_hi:[0,0,0] cbsz:4 blgp:4// 00000000442C: D3AC7800 180395CE D3AD8C2C 84B26974
	buffer_load_dwordx4 v[164:167], v230, s[16:19], 0 offen offset:1024// 00000000443C: E05C1400 8004A4E6
	buffer_load_dword v209, v240, s[24:27], 0 offen            // 000000004444: E0501000 8006D1F0
	s_waitcnt vmcnt(10)                                        // 00000000444C: BF8C0F7A
	v_mfma_scale_f32_16x16x128_f8f6f4 a[48:51], v[120:123], v[40:43], a[48:51], v207, v202 op_sel_hi:[0,0,0] cbsz:4 blgp:4// 000000004450: D3AC6000 000395CF D3AD8C30 84C25178
	v_mfma_scale_f32_16x16x128_f8f6f4 a[52:55], v[120:123], v[44:47], a[52:55], v207, v202 op_sel_hi:[0,0,0] cbsz:4 blgp:4// 000000004460: D3AC7000 000395CF D3AD8C34 84D25978
	buffer_load_dwordx4 v[168:171], v231, s[16:19], 0 offen    // 000000004470: E05C1000 8004A8E7
	v_mfma_scale_f32_16x16x128_f8f6f4 a[56:59], v[124:127], v[40:43], a[56:59], v207, v202 op_sel_hi:[0,0,0] cbsz:4 blgp:4// 000000004478: D3AC6800 000395CF D3AD8C38 84E2517C
	v_mfma_scale_f32_16x16x128_f8f6f4 a[60:63], v[124:127], v[44:47], a[60:63], v207, v202 op_sel_hi:[0,0,0] cbsz:4 blgp:4// 000000004488: D3AC7800 000395CF D3AD8C3C 84F2597C
	buffer_load_dwordx4 v[172:175], v232, s[16:19], 0 offen    // 000000004498: E05C1000 8004ACE8
	v_mfma_scale_f32_16x16x128_f8f6f4 a[48:51], v[128:131], v[48:51], a[48:51], v207, v202 op_sel_hi:[0,0,0] cbsz:4 blgp:4// 0000000044A0: D3AC6000 180395CF D3AD8C30 84C26180
	v_mfma_scale_f32_16x16x128_f8f6f4 a[52:55], v[128:131], v[52:55], a[52:55], v207, v202 op_sel_hi:[0,0,0] cbsz:4 blgp:4// 0000000044B0: D3AC7000 180395CF D3AD8C34 84D26980
	buffer_load_dwordx4 v[176:179], v231, s[16:19], 0 offen offset:1024// 0000000044C0: E05C1400 8004B0E7
	v_mfma_scale_f32_16x16x128_f8f6f4 a[56:59], v[132:135], v[48:51], a[56:59], v207, v202 op_sel_hi:[0,0,0] cbsz:4 blgp:4// 0000000044C8: D3AC6800 180395CF D3AD8C38 84E26184
	v_mfma_scale_f32_16x16x128_f8f6f4 a[60:63], v[132:135], v[52:55], a[60:63], v207, v202 op_sel_hi:[0,0,0] cbsz:4 blgp:4// 0000000044D8: D3AC7800 180395CF D3AD8C3C 84F26984
	buffer_load_dwordx4 v[180:183], v232, s[16:19], 0 offen offset:1024// 0000000044E8: E05C1400 8004B4E8
	buffer_load_dword v210, v241, s[24:27], 0 offen            // 0000000044F0: E0501000 8006D2F1
	s_waitcnt vmcnt(10)                                        // 0000000044F8: BF8C0F7A
	v_mfma_scale_f32_16x16x128_f8f6f4 a[64:67], v[136:139], v[40:43], a[64:67], v208, v202 op_sel_hi:[0,0,0] cbsz:4 blgp:4// 0000000044FC: D3AC6000 000395D0 D3AD8C40 85025188
	s_add_u32 s63, 0x100, s60                                  // 00000000450C: 803F3CFF 00000100
	s_cmp_lt_u32 s63, s61                                      // 000000004514: BF0A3D3F
	v_mfma_scale_f32_16x16x128_f8f6f4 a[68:71], v[136:139], v[44:47], a[68:71], v208, v202 op_sel_hi:[0,0,0] cbsz:4 blgp:4// 000000004518: D3AC7000 000395D0 D3AD8C44 85125988
	s_cselect_b32 s67, s67, 0                                  // 000000004528: 85438043
	buffer_load_dwordx4 v[184:187], v233, s[16:19], 0 offen    // 00000000452C: E05C1000 8004B8E9
	v_mfma_scale_f32_16x16x128_f8f6f4 a[72:75], v[140:143], v[40:43], a[72:75], v208, v202 op_sel_hi:[0,0,0] cbsz:4 blgp:4// 000000004534: D3AC6800 000395D0 D3AD8C48 8522518C
	s_cselect_b32 s69, s69, 0                                  // 000000004544: 85458045
	v_mfma_scale_f32_16x16x128_f8f6f4 a[76:79], v[140:143], v[44:47], a[76:79], v208, v202 op_sel_hi:[0,0,0] cbsz:4 blgp:4// 000000004548: D3AC7800 000395D0 D3AD8C4C 8532598C
	buffer_load_dwordx4 v[188:191], v234, s[16:19], 0 offen    // 000000004558: E05C1000 8004BCEA
	v_mfma_scale_f32_16x16x128_f8f6f4 a[64:67], v[144:147], v[48:51], a[64:67], v208, v202 op_sel_hi:[0,0,0] cbsz:4 blgp:4// 000000004560: D3AC6000 180395D0 D3AD8C40 85026190
	v_mfma_scale_f32_16x16x128_f8f6f4 a[68:71], v[144:147], v[52:55], a[68:71], v208, v202 op_sel_hi:[0,0,0] cbsz:4 blgp:4// 000000004570: D3AC7000 180395D0 D3AD8C44 85126990
	buffer_load_dwordx4 v[192:195], v233, s[16:19], 0 offen offset:1024// 000000004580: E05C1400 8004C0E9
	v_mfma_scale_f32_16x16x128_f8f6f4 a[72:75], v[148:151], v[48:51], a[72:75], v208, v202 op_sel_hi:[0,0,0] cbsz:4 blgp:4// 000000004588: D3AC6800 180395D0 D3AD8C48 85226194
	v_mfma_scale_f32_16x16x128_f8f6f4 a[76:79], v[148:151], v[52:55], a[76:79], v208, v202 op_sel_hi:[0,0,0] cbsz:4 blgp:4// 000000004598: D3AC7800 180395D0 D3AD8C4C 85326994
	buffer_load_dwordx4 v[196:199], v234, s[16:19], 0 offen offset:1024// 0000000045A8: E05C1400 8004C4EA
	buffer_load_dword v211, v242, s[24:27], 0 offen            // 0000000045B0: E0501000 8006D3F2
	s_add_u32 s16, s16, s67                                    // 0000000045B8: 80104310
	s_addc_u32 s17, 0, s17                                     // 0000000045BC: 82111180
	s_sub_u32 s18, s18, s67                                    // 0000000045C0: 80924312
	s_add_u32 s24, s24, s69                                    // 0000000045C4: 80184518
	s_addc_u32 s25, 0, s25                                     // 0000000045C8: 82191980
	s_sub_u32 s26, s26, s69                                    // 0000000045CC: 809A451A
	s_add_u32 m0, 0, s65                                       // 0000000045D0: 807C4180
	buffer_load_dword v217, s[20:23], 0 offen lds              // 0000000045D4: E0511000 800500D9
	s_waitcnt vmcnt(11)                                        // 0000000045DC: BF8C0F7B
	v_mfma_scale_f32_16x16x128_f8f6f4 a[80:83], v[152:155], v[40:43], a[80:83], v209, v202 op_sel_hi:[0,0,0] cbsz:4 blgp:4// 0000000045E0: D3AC6000 000395D1 D3AD8C50 85425198
	v_mfma_scale_f32_16x16x128_f8f6f4 a[84:87], v[152:155], v[44:47], a[84:87], v209, v202 op_sel_hi:[0,0,0] cbsz:4 blgp:4// 0000000045F0: D3AC7000 000395D1 D3AD8C54 85525998
	s_add_u32 m0, 0, s64                                       // 000000004600: 807C4080
	buffer_load_dwordx4 v212, s[12:15], 0 offen lds            // 000000004604: E05D1000 800300D4
	v_mfma_scale_f32_16x16x128_f8f6f4 a[88:91], v[156:159], v[40:43], a[88:91], v209, v202 op_sel_hi:[0,0,0] cbsz:4 blgp:4// 00000000460C: D3AC6800 000395D1 D3AD8C58 8562519C
	s_add_u32 s62, 0x300, s60                                  // 00000000461C: 803E3CFF 00000300
	s_cmp_lt_u32 s62, s61                                      // 000000004624: BF0A3D3E
	v_mfma_scale_f32_16x16x128_f8f6f4 a[92:95], v[156:159], v[44:47], a[92:95], v209, v202 op_sel_hi:[0,0,0] cbsz:4 blgp:4// 000000004628: D3AC7800 000395D1 D3AD8C5C 8572599C
	s_cselect_b32 s66, s66, 0                                  // 000000004638: 85428042
	buffer_load_dwordx4 v[72:75], v219, s[16:19], 0 offen      // 00000000463C: E05C1000 800448DB
	v_mfma_scale_f32_16x16x128_f8f6f4 a[80:83], v[160:163], v[48:51], a[80:83], v209, v202 op_sel_hi:[0,0,0] cbsz:4 blgp:4// 000000004644: D3AC6000 180395D1 D3AD8C50 854261A0
	s_cselect_b32 s68, s68, 0                                  // 000000004654: 85448044
	s_add_u32 s12, s12, s66                                    // 000000004658: 800C420C
	v_mfma_scale_f32_16x16x128_f8f6f4 a[84:87], v[160:163], v[52:55], a[84:87], v209, v202 op_sel_hi:[0,0,0] cbsz:4 blgp:4// 00000000465C: D3AC7000 180395D1 D3AD8C54 855269A0
	s_addc_u32 s13, 0, s13                                     // 00000000466C: 820D0D80
	buffer_load_dwordx4 v[76:79], v220, s[16:19], 0 offen      // 000000004670: E05C1000 80044CDC
	v_mfma_scale_f32_16x16x128_f8f6f4 a[88:91], v[164:167], v[48:51], a[88:91], v209, v202 op_sel_hi:[0,0,0] cbsz:4 blgp:4// 000000004678: D3AC6800 180395D1 D3AD8C58 856261A4
	s_sub_u32 s14, s14, s66                                    // 000000004688: 808E420E
	s_add_u32 s20, s20, s68                                    // 00000000468C: 80144414
	v_mfma_scale_f32_16x16x128_f8f6f4 a[92:95], v[164:167], v[52:55], a[92:95], v209, v202 op_sel_hi:[0,0,0] cbsz:4 blgp:4// 000000004690: D3AC7800 180395D1 D3AD8C5C 857269A4
	s_addc_u32 s21, 0, s21                                     // 0000000046A0: 82151580
	buffer_load_dwordx4 v[80:83], v219, s[16:19], 0 offen offset:1024// 0000000046A4: E05C1400 800450DB
	s_sub_u32 s22, s22, s68                                    // 0000000046AC: 80964416
	buffer_load_dwordx4 v[84:87], v220, s[16:19], 0 offen offset:1024// 0000000046B0: E05C1400 800454DC
	buffer_load_dword v204, v235, s[24:27], 0 offen            // 0000000046B8: E0501000 8006CCEB
	s_waitcnt vmcnt(12)                                        // 0000000046C0: BF8C0F7C
	v_mfma_scale_f32_16x16x128_f8f6f4 a[96:99], v[168:171], v[40:43], a[96:99], v210, v202 op_sel_hi:[0,0,0] cbsz:4 blgp:4// 0000000046C4: D3AC6000 000395D2 D3AD8C60 858251A8
	v_mfma_scale_f32_16x16x128_f8f6f4 a[100:103], v[168:171], v[44:47], a[100:103], v210, v202 op_sel_hi:[0,0,0] cbsz:4 blgp:4// 0000000046D4: D3AC7000 000395D2 D3AD8C64 859259A8
	buffer_load_dwordx4 v[88:91], v221, s[16:19], 0 offen      // 0000000046E4: E05C1000 800458DD
	v_mfma_scale_f32_16x16x128_f8f6f4 a[104:107], v[172:175], v[40:43], a[104:107], v210, v202 op_sel_hi:[0,0,0] cbsz:4 blgp:4// 0000000046EC: D3AC6800 000395D2 D3AD8C68 85A251AC
	v_mfma_scale_f32_16x16x128_f8f6f4 a[108:111], v[172:175], v[44:47], a[108:111], v210, v202 op_sel_hi:[0,0,0] cbsz:4 blgp:4// 0000000046FC: D3AC7800 000395D2 D3AD8C6C 85B259AC
	buffer_load_dwordx4 v[92:95], v222, s[16:19], 0 offen      // 00000000470C: E05C1000 80045CDE
	v_mfma_scale_f32_16x16x128_f8f6f4 a[96:99], v[176:179], v[48:51], a[96:99], v210, v202 op_sel_hi:[0,0,0] cbsz:4 blgp:4// 000000004714: D3AC6000 180395D2 D3AD8C60 858261B0
	v_mfma_scale_f32_16x16x128_f8f6f4 a[100:103], v[176:179], v[52:55], a[100:103], v210, v202 op_sel_hi:[0,0,0] cbsz:4 blgp:4// 000000004724: D3AC7000 180395D2 D3AD8C64 859269B0
	buffer_load_dwordx4 v[96:99], v221, s[16:19], 0 offen offset:1024// 000000004734: E05C1400 800460DD
	v_mfma_scale_f32_16x16x128_f8f6f4 a[104:107], v[180:183], v[48:51], a[104:107], v210, v202 op_sel_hi:[0,0,0] cbsz:4 blgp:4// 00000000473C: D3AC6800 180395D2 D3AD8C68 85A261B4
	v_mfma_scale_f32_16x16x128_f8f6f4 a[108:111], v[180:183], v[52:55], a[108:111], v210, v202 op_sel_hi:[0,0,0] cbsz:4 blgp:4// 00000000474C: D3AC7800 180395D2 D3AD8C6C 85B269B4
	buffer_load_dwordx4 v[100:103], v222, s[16:19], 0 offen offset:1024// 00000000475C: E05C1400 800464DE
	buffer_load_dword v205, v236, s[24:27], 0 offen            // 000000004764: E0501000 8006CDEC
	s_waitcnt vmcnt(10)                                        // 00000000476C: BF8C0F7A
	s_barrier                                                  // 000000004770: BF8A0000
	v_mfma_scale_f32_16x16x128_f8f6f4 a[112:115], v[184:187], v[40:43], a[112:115], v211, v202 op_sel_hi:[0,0,0] cbsz:4 blgp:4// 000000004774: D3AC6000 000395D3 D3AD8C70 85C251B8
	s_addk_i32 s60, 0x100                                      // 000000004784: B73C0100
	ds_read_b128 v[8:11], v213                                 // 000000004788: D9FE0000 080000D5
	v_mfma_scale_f32_16x16x128_f8f6f4 a[116:119], v[184:187], v[44:47], a[116:119], v211, v202 op_sel_hi:[0,0,0] cbsz:4 blgp:4// 000000004790: D3AC7000 000395D3 D3AD8C74 85D259B8
	s_cmp_lt_i32 s60, s61                                      // 0000000047A0: BF043D3C
	buffer_load_dwordx4 v[104:107], v223, s[16:19], 0 offen    // 0000000047A4: E05C1000 800468DF
	v_mfma_scale_f32_16x16x128_f8f6f4 a[120:123], v[188:191], v[40:43], a[120:123], v211, v202 op_sel_hi:[0,0,0] cbsz:4 blgp:4// 0000000047AC: D3AC6800 000395D3 D3AD8C78 85E251BC
	ds_read_b128 v[16:19], v213 offset:64                      // 0000000047BC: D9FE0040 100000D5
	v_mfma_scale_f32_16x16x128_f8f6f4 a[124:127], v[188:191], v[44:47], a[124:127], v211, v202 op_sel_hi:[0,0,0] cbsz:4 blgp:4// 0000000047C4: D3AC7800 000395D3 D3AD8C7C 85F259BC
	buffer_load_dwordx4 v[108:111], v224, s[16:19], 0 offen    // 0000000047D4: E05C1000 80046CE0
	v_mfma_scale_f32_16x16x128_f8f6f4 a[112:115], v[192:195], v[48:51], a[112:115], v211, v202 op_sel_hi:[0,0,0] cbsz:4 blgp:4// 0000000047DC: D3AC6000 180395D3 D3AD8C70 85C261C0
	ds_read_b128 v[12:15], v213 offset:512                     // 0000000047EC: D9FE0200 0C0000D5
	v_mfma_scale_f32_16x16x128_f8f6f4 a[116:119], v[192:195], v[52:55], a[116:119], v211, v202 op_sel_hi:[0,0,0] cbsz:4 blgp:4// 0000000047F4: D3AC7000 180395D3 D3AD8C74 85D269C0
	buffer_load_dwordx4 v[112:115], v223, s[16:19], 0 offen offset:1024// 000000004804: E05C1400 800470DF
	v_mfma_scale_f32_16x16x128_f8f6f4 a[120:123], v[196:199], v[48:51], a[120:123], v211, v202 op_sel_hi:[0,0,0] cbsz:4 blgp:4// 00000000480C: D3AC6800 180395D3 D3AD8C78 85E261C4
	ds_read_b128 v[20:23], v213 offset:576                     // 00000000481C: D9FE0240 140000D5
	v_mfma_scale_f32_16x16x128_f8f6f4 a[124:127], v[196:199], v[52:55], a[124:127], v211, v202 op_sel_hi:[0,0,0] cbsz:4 blgp:4// 000000004824: D3AC7800 180395D3 D3AD8C7C 85F269C4
	buffer_load_dwordx4 v[116:119], v224, s[16:19], 0 offen offset:1024// 000000004834: E05C1400 800474E0
	ds_read_b32 v200, v218                                     // 00000000483C: D86C0000 C80000DA
	buffer_load_dword v206, v237, s[24:27], 0 offen            // 000000004844: E0501000 8006CEED
	s_cbranch_scc0 label_0EA8                                  // 00000000484C: BF840794
	s_waitcnt vmcnt(10) lgkmcnt(5)                             // 000000004850: BF8C057A
	v_mfma_scale_f32_16x16x128_f8f6f4 a[0:3], v[72:75], v[56:59], a[0:3], v204, v203 op_sel_hi:[0,0,0] cbsz:4 blgp:4// 000000004854: D3AC6000 000397CC D3AD8C00 84027148
	v_mfma_scale_f32_16x16x128_f8f6f4 a[4:7], v[72:75], v[60:63], a[4:7], v204, v203 op_sel_hi:[0,0,0] cbsz:4 blgp:4// 000000004864: D3AC7000 000397CC D3AD8C04 84127948
	buffer_load_dwordx4 v[120:123], v225, s[16:19], 0 offen    // 000000004874: E05C1000 800478E1
	v_mfma_scale_f32_16x16x128_f8f6f4 a[8:11], v[76:79], v[56:59], a[8:11], v204, v203 op_sel_hi:[0,0,0] cbsz:4 blgp:4// 00000000487C: D3AC6800 000397CC D3AD8C08 8422714C
	v_mfma_scale_f32_16x16x128_f8f6f4 a[12:15], v[76:79], v[60:63], a[12:15], v204, v203 op_sel_hi:[0,0,0] cbsz:4 blgp:4// 00000000488C: D3AC7800 000397CC D3AD8C0C 8432794C
	buffer_load_dwordx4 v[124:127], v226, s[16:19], 0 offen    // 00000000489C: E05C1000 80047CE2
	v_mfma_scale_f32_16x16x128_f8f6f4 a[0:3], v[80:83], v[64:67], a[0:3], v204, v203 op_sel_hi:[0,0,0] cbsz:4 blgp:4// 0000000048A4: D3AC6000 180397CC D3AD8C00 84028150
	v_mfma_scale_f32_16x16x128_f8f6f4 a[4:7], v[80:83], v[68:71], a[4:7], v204, v203 op_sel_hi:[0,0,0] cbsz:4 blgp:4// 0000000048B4: D3AC7000 180397CC D3AD8C04 84128950
	buffer_load_dwordx4 v[128:131], v225, s[16:19], 0 offen offset:1024// 0000000048C4: E05C1400 800480E1
	v_mfma_scale_f32_16x16x128_f8f6f4 a[8:11], v[84:87], v[64:67], a[8:11], v204, v203 op_sel_hi:[0,0,0] cbsz:4 blgp:4// 0000000048CC: D3AC6800 180397CC D3AD8C08 84228154
	v_mfma_scale_f32_16x16x128_f8f6f4 a[12:15], v[84:87], v[68:71], a[12:15], v204, v203 op_sel_hi:[0,0,0] cbsz:4 blgp:4// 0000000048DC: D3AC7800 180397CC D3AD8C0C 84328954
	buffer_load_dwordx4 v[132:135], v226, s[16:19], 0 offen offset:1024// 0000000048EC: E05C1400 800484E2
	buffer_load_dword v207, v238, s[24:27], 0 offen            // 0000000048F4: E0501000 8006CFEE
	s_waitcnt vmcnt(10)                                        // 0000000048FC: BF8C0F7A
	v_mfma_scale_f32_16x16x128_f8f6f4 a[16:19], v[88:91], v[56:59], a[16:19], v205, v203 op_sel_hi:[0,0,0] cbsz:4 blgp:4// 000000004900: D3AC6000 000397CD D3AD8C10 84427158
	v_mfma_scale_f32_16x16x128_f8f6f4 a[20:23], v[88:91], v[60:63], a[20:23], v205, v203 op_sel_hi:[0,0,0] cbsz:4 blgp:4// 000000004910: D3AC7000 000397CD D3AD8C14 84527958
	buffer_load_dwordx4 v[136:139], v227, s[16:19], 0 offen    // 000000004920: E05C1000 800488E3
	v_mfma_scale_f32_16x16x128_f8f6f4 a[24:27], v[92:95], v[56:59], a[24:27], v205, v203 op_sel_hi:[0,0,0] cbsz:4 blgp:4// 000000004928: D3AC6800 000397CD D3AD8C18 8462715C
	v_mfma_scale_f32_16x16x128_f8f6f4 a[28:31], v[92:95], v[60:63], a[28:31], v205, v203 op_sel_hi:[0,0,0] cbsz:4 blgp:4// 000000004938: D3AC7800 000397CD D3AD8C1C 8472795C
	buffer_load_dwordx4 v[140:143], v228, s[16:19], 0 offen    // 000000004948: E05C1000 80048CE4
	v_mfma_scale_f32_16x16x128_f8f6f4 a[16:19], v[96:99], v[64:67], a[16:19], v205, v203 op_sel_hi:[0,0,0] cbsz:4 blgp:4// 000000004950: D3AC6000 180397CD D3AD8C10 84428160
	v_mfma_scale_f32_16x16x128_f8f6f4 a[20:23], v[96:99], v[68:71], a[20:23], v205, v203 op_sel_hi:[0,0,0] cbsz:4 blgp:4// 000000004960: D3AC7000 180397CD D3AD8C14 84528960
	buffer_load_dwordx4 v[144:147], v227, s[16:19], 0 offen offset:1024// 000000004970: E05C1400 800490E3
	v_mfma_scale_f32_16x16x128_f8f6f4 a[24:27], v[100:103], v[64:67], a[24:27], v205, v203 op_sel_hi:[0,0,0] cbsz:4 blgp:4// 000000004978: D3AC6800 180397CD D3AD8C18 84628164
	v_mfma_scale_f32_16x16x128_f8f6f4 a[28:31], v[100:103], v[68:71], a[28:31], v205, v203 op_sel_hi:[0,0,0] cbsz:4 blgp:4// 000000004988: D3AC7800 180397CD D3AD8C1C 84728964
	buffer_load_dwordx4 v[148:151], v228, s[16:19], 0 offen offset:1024// 000000004998: E05C1400 800494E4
	buffer_load_dword v208, v239, s[24:27], 0 offen            // 0000000049A0: E0501000 8006D0EF
	s_waitcnt vmcnt(10)                                        // 0000000049A8: BF8C0F7A
	v_mfma_scale_f32_16x16x128_f8f6f4 a[32:35], v[104:107], v[56:59], a[32:35], v206, v203 op_sel_hi:[0,0,0] cbsz:4 blgp:4// 0000000049AC: D3AC6000 000397CE D3AD8C20 84827168
	v_mfma_scale_f32_16x16x128_f8f6f4 a[36:39], v[104:107], v[60:63], a[36:39], v206, v203 op_sel_hi:[0,0,0] cbsz:4 blgp:4// 0000000049BC: D3AC7000 000397CE D3AD8C24 84927968
	buffer_load_dwordx4 v[152:155], v229, s[16:19], 0 offen    // 0000000049CC: E05C1000 800498E5
	v_mfma_scale_f32_16x16x128_f8f6f4 a[40:43], v[108:111], v[56:59], a[40:43], v206, v203 op_sel_hi:[0,0,0] cbsz:4 blgp:4// 0000000049D4: D3AC6800 000397CE D3AD8C28 84A2716C
	v_mfma_scale_f32_16x16x128_f8f6f4 a[44:47], v[108:111], v[60:63], a[44:47], v206, v203 op_sel_hi:[0,0,0] cbsz:4 blgp:4// 0000000049E4: D3AC7800 000397CE D3AD8C2C 84B2796C
	buffer_load_dwordx4 v[156:159], v230, s[16:19], 0 offen    // 0000000049F4: E05C1000 80049CE6
	v_mfma_scale_f32_16x16x128_f8f6f4 a[32:35], v[112:115], v[64:67], a[32:35], v206, v203 op_sel_hi:[0,0,0] cbsz:4 blgp:4// 0000000049FC: D3AC6000 180397CE D3AD8C20 84828170
	v_mfma_scale_f32_16x16x128_f8f6f4 a[36:39], v[112:115], v[68:71], a[36:39], v206, v203 op_sel_hi:[0,0,0] cbsz:4 blgp:4// 000000004A0C: D3AC7000 180397CE D3AD8C24 84928970
	buffer_load_dwordx4 v[160:163], v229, s[16:19], 0 offen offset:1024// 000000004A1C: E05C1400 8004A0E5
	v_mfma_scale_f32_16x16x128_f8f6f4 a[40:43], v[116:119], v[64:67], a[40:43], v206, v203 op_sel_hi:[0,0,0] cbsz:4 blgp:4// 000000004A24: D3AC6800 180397CE D3AD8C28 84A28174
	v_mfma_scale_f32_16x16x128_f8f6f4 a[44:47], v[116:119], v[68:71], a[44:47], v206, v203 op_sel_hi:[0,0,0] cbsz:4 blgp:4// 000000004A34: D3AC7800 180397CE D3AD8C2C 84B28974
	buffer_load_dwordx4 v[164:167], v230, s[16:19], 0 offen offset:1024// 000000004A44: E05C1400 8004A4E6
	buffer_load_dword v209, v240, s[24:27], 0 offen            // 000000004A4C: E0501000 8006D1F0
	s_waitcnt vmcnt(10)                                        // 000000004A54: BF8C0F7A
	v_mfma_scale_f32_16x16x128_f8f6f4 a[48:51], v[120:123], v[56:59], a[48:51], v207, v203 op_sel_hi:[0,0,0] cbsz:4 blgp:4// 000000004A58: D3AC6000 000397CF D3AD8C30 84C27178
	v_mfma_scale_f32_16x16x128_f8f6f4 a[52:55], v[120:123], v[60:63], a[52:55], v207, v203 op_sel_hi:[0,0,0] cbsz:4 blgp:4// 000000004A68: D3AC7000 000397CF D3AD8C34 84D27978
	buffer_load_dwordx4 v[168:171], v231, s[16:19], 0 offen    // 000000004A78: E05C1000 8004A8E7
	v_mfma_scale_f32_16x16x128_f8f6f4 a[56:59], v[124:127], v[56:59], a[56:59], v207, v203 op_sel_hi:[0,0,0] cbsz:4 blgp:4// 000000004A80: D3AC6800 000397CF D3AD8C38 84E2717C
	v_mfma_scale_f32_16x16x128_f8f6f4 a[60:63], v[124:127], v[60:63], a[60:63], v207, v203 op_sel_hi:[0,0,0] cbsz:4 blgp:4// 000000004A90: D3AC7800 000397CF D3AD8C3C 84F2797C
	buffer_load_dwordx4 v[172:175], v232, s[16:19], 0 offen    // 000000004AA0: E05C1000 8004ACE8
	v_mfma_scale_f32_16x16x128_f8f6f4 a[48:51], v[128:131], v[64:67], a[48:51], v207, v203 op_sel_hi:[0,0,0] cbsz:4 blgp:4// 000000004AA8: D3AC6000 180397CF D3AD8C30 84C28180
	v_mfma_scale_f32_16x16x128_f8f6f4 a[52:55], v[128:131], v[68:71], a[52:55], v207, v203 op_sel_hi:[0,0,0] cbsz:4 blgp:4// 000000004AB8: D3AC7000 180397CF D3AD8C34 84D28980
	buffer_load_dwordx4 v[176:179], v231, s[16:19], 0 offen offset:1024// 000000004AC8: E05C1400 8004B0E7
	v_mfma_scale_f32_16x16x128_f8f6f4 a[56:59], v[132:135], v[64:67], a[56:59], v207, v203 op_sel_hi:[0,0,0] cbsz:4 blgp:4// 000000004AD0: D3AC6800 180397CF D3AD8C38 84E28184
	v_mfma_scale_f32_16x16x128_f8f6f4 a[60:63], v[132:135], v[68:71], a[60:63], v207, v203 op_sel_hi:[0,0,0] cbsz:4 blgp:4// 000000004AE0: D3AC7800 180397CF D3AD8C3C 84F28984
	buffer_load_dwordx4 v[180:183], v232, s[16:19], 0 offen offset:1024// 000000004AF0: E05C1400 8004B4E8
	buffer_load_dword v210, v241, s[24:27], 0 offen            // 000000004AF8: E0501000 8006D2F1
	s_waitcnt vmcnt(10)                                        // 000000004B00: BF8C0F7A
	v_mfma_scale_f32_16x16x128_f8f6f4 a[64:67], v[136:139], v[56:59], a[64:67], v208, v203 op_sel_hi:[0,0,0] cbsz:4 blgp:4// 000000004B04: D3AC6000 000397D0 D3AD8C40 85027188
	s_add_u32 s63, 0x100, s60                                  // 000000004B14: 803F3CFF 00000100
	s_cmp_lt_u32 s63, s61                                      // 000000004B1C: BF0A3D3F
	v_mfma_scale_f32_16x16x128_f8f6f4 a[68:71], v[136:139], v[60:63], a[68:71], v208, v203 op_sel_hi:[0,0,0] cbsz:4 blgp:4// 000000004B20: D3AC7000 000397D0 D3AD8C44 85127988
	s_cselect_b32 s67, s67, 0                                  // 000000004B30: 85438043
	buffer_load_dwordx4 v[184:187], v233, s[16:19], 0 offen    // 000000004B34: E05C1000 8004B8E9
	v_mfma_scale_f32_16x16x128_f8f6f4 a[72:75], v[140:143], v[56:59], a[72:75], v208, v203 op_sel_hi:[0,0,0] cbsz:4 blgp:4// 000000004B3C: D3AC6800 000397D0 D3AD8C48 8522718C
	s_cselect_b32 s69, s69, 0                                  // 000000004B4C: 85458045
	v_mfma_scale_f32_16x16x128_f8f6f4 a[76:79], v[140:143], v[60:63], a[76:79], v208, v203 op_sel_hi:[0,0,0] cbsz:4 blgp:4// 000000004B50: D3AC7800 000397D0 D3AD8C4C 8532798C
	buffer_load_dwordx4 v[188:191], v234, s[16:19], 0 offen    // 000000004B60: E05C1000 8004BCEA
	v_mfma_scale_f32_16x16x128_f8f6f4 a[64:67], v[144:147], v[64:67], a[64:67], v208, v203 op_sel_hi:[0,0,0] cbsz:4 blgp:4// 000000004B68: D3AC6000 180397D0 D3AD8C40 85028190
	v_mfma_scale_f32_16x16x128_f8f6f4 a[68:71], v[144:147], v[68:71], a[68:71], v208, v203 op_sel_hi:[0,0,0] cbsz:4 blgp:4// 000000004B78: D3AC7000 180397D0 D3AD8C44 85128990
	buffer_load_dwordx4 v[192:195], v233, s[16:19], 0 offen offset:1024// 000000004B88: E05C1400 8004C0E9
	v_mfma_scale_f32_16x16x128_f8f6f4 a[72:75], v[148:151], v[64:67], a[72:75], v208, v203 op_sel_hi:[0,0,0] cbsz:4 blgp:4// 000000004B90: D3AC6800 180397D0 D3AD8C48 85228194
	v_mfma_scale_f32_16x16x128_f8f6f4 a[76:79], v[148:151], v[68:71], a[76:79], v208, v203 op_sel_hi:[0,0,0] cbsz:4 blgp:4// 000000004BA0: D3AC7800 180397D0 D3AD8C4C 85328994
	buffer_load_dwordx4 v[196:199], v234, s[16:19], 0 offen offset:1024// 000000004BB0: E05C1400 8004C4EA
	buffer_load_dword v211, v242, s[24:27], 0 offen            // 000000004BB8: E0501000 8006D3F2
	s_add_u32 s16, s16, s67                                    // 000000004BC0: 80104310
	s_addc_u32 s17, 0, s17                                     // 000000004BC4: 82111180
	s_sub_u32 s18, s18, s67                                    // 000000004BC8: 80924312
	s_add_u32 s24, s24, s69                                    // 000000004BCC: 80184518
	s_addc_u32 s25, 0, s25                                     // 000000004BD0: 82191980
	s_sub_u32 s26, s26, s69                                    // 000000004BD4: 809A451A
	s_add_u32 m0, 0x400, s65                                   // 000000004BD8: 807C41FF 00000400
	buffer_load_dword v217, s[20:23], 0 offen lds              // 000000004BE0: E0511000 800500D9
	s_waitcnt vmcnt(11)                                        // 000000004BE8: BF8C0F7B
	v_mfma_scale_f32_16x16x128_f8f6f4 a[80:83], v[152:155], v[56:59], a[80:83], v209, v203 op_sel_hi:[0,0,0] cbsz:4 blgp:4// 000000004BEC: D3AC2000 000397D1 D3AD8C50 85427198
	v_mfma_scale_f32_16x16x128_f8f6f4 a[84:87], v[152:155], v[60:63], a[84:87], v209, v203 op_sel_hi:[0,0,0] cbsz:4 blgp:4// 000000004BFC: D3AC7000 000397D1 D3AD8C54 85527998
	s_add_u32 m0, 0x1080, s64                                  // 000000004C0C: 807C40FF 00001080
	buffer_load_dwordx4 v212, s[12:15], 0 offen lds            // 000000004C14: E05D1000 800300D4
	v_mfma_scale_f32_16x16x128_f8f6f4 a[88:91], v[156:159], v[56:59], a[88:91], v209, v203 op_sel_hi:[0,0,0] cbsz:4 blgp:4// 000000004C1C: D3AC6800 000397D1 D3AD8C58 8562719C
	s_add_u32 s62, 0x300, s60                                  // 000000004C2C: 803E3CFF 00000300
	s_cmp_lt_u32 s62, s61                                      // 000000004C34: BF0A3D3E
	v_mfma_scale_f32_16x16x128_f8f6f4 a[92:95], v[156:159], v[60:63], a[92:95], v209, v203 op_sel_hi:[0,0,0] cbsz:4 blgp:4// 000000004C38: D3AC7800 000397D1 D3AD8C5C 8572799C
	s_cselect_b32 s66, s66, 0                                  // 000000004C48: 85428042
	buffer_load_dwordx4 v[72:75], v219, s[16:19], 0 offen      // 000000004C4C: E05C1000 800448DB
	v_mfma_scale_f32_16x16x128_f8f6f4 a[80:83], v[160:163], v[64:67], a[80:83], v209, v203 op_sel_hi:[0,0,0] cbsz:4 blgp:4// 000000004C54: D3AC6000 180397D1 D3AD8C50 854281A0
	s_cselect_b32 s68, s68, 0                                  // 000000004C64: 85448044
	s_add_u32 s12, s12, s66                                    // 000000004C68: 800C420C
	v_mfma_scale_f32_16x16x128_f8f6f4 a[84:87], v[160:163], v[68:71], a[84:87], v209, v203 op_sel_hi:[0,0,0] cbsz:4 blgp:4// 000000004C6C: D3AC7000 180397D1 D3AD8C54 855289A0
	s_addc_u32 s13, 0, s13                                     // 000000004C7C: 820D0D80
	buffer_load_dwordx4 v[76:79], v220, s[16:19], 0 offen      // 000000004C80: E05C1000 80044CDC
	v_mfma_scale_f32_16x16x128_f8f6f4 a[88:91], v[164:167], v[64:67], a[88:91], v209, v203 op_sel_hi:[0,0,0] cbsz:4 blgp:4// 000000004C88: D3AC6800 180397D1 D3AD8C58 856281A4
	s_sub_u32 s14, s14, s66                                    // 000000004C98: 808E420E
	s_add_u32 s20, s20, s68                                    // 000000004C9C: 80144414
	v_mfma_scale_f32_16x16x128_f8f6f4 a[92:95], v[164:167], v[68:71], a[92:95], v209, v203 op_sel_hi:[0,0,0] cbsz:4 blgp:4// 000000004CA0: D3AC7800 180397D1 D3AD8C5C 857289A4
	s_addc_u32 s21, 0, s21                                     // 000000004CB0: 82151580
	buffer_load_dwordx4 v[80:83], v219, s[16:19], 0 offen offset:1024// 000000004CB4: E05C1400 800450DB
	s_sub_u32 s22, s22, s68                                    // 000000004CBC: 80964416
	buffer_load_dwordx4 v[84:87], v220, s[16:19], 0 offen offset:1024// 000000004CC0: E05C1400 800454DC
	buffer_load_dword v204, v235, s[24:27], 0 offen            // 000000004CC8: E0501000 8006CCEB
	s_waitcnt vmcnt(12)                                        // 000000004CD0: BF8C0F7C
	v_mfma_scale_f32_16x16x128_f8f6f4 a[96:99], v[168:171], v[56:59], a[96:99], v210, v203 op_sel_hi:[0,0,0] cbsz:4 blgp:4// 000000004CD4: D3AC6000 000397D2 D3AD8C60 858271A8
	v_mfma_scale_f32_16x16x128_f8f6f4 a[100:103], v[168:171], v[60:63], a[100:103], v210, v203 op_sel_hi:[0,0,0] cbsz:4 blgp:4// 000000004CE4: D3AC7000 000397D2 D3AD8C64 859279A8
	buffer_load_dwordx4 v[88:91], v221, s[16:19], 0 offen      // 000000004CF4: E05C1000 800458DD
	v_mfma_scale_f32_16x16x128_f8f6f4 a[104:107], v[172:175], v[56:59], a[104:107], v210, v203 op_sel_hi:[0,0,0] cbsz:4 blgp:4// 000000004CFC: D3AC6800 000397D2 D3AD8C68 85A271AC
	v_mfma_scale_f32_16x16x128_f8f6f4 a[108:111], v[172:175], v[60:63], a[108:111], v210, v203 op_sel_hi:[0,0,0] cbsz:4 blgp:4// 000000004D0C: D3AC7800 000397D2 D3AD8C6C 85B279AC
	buffer_load_dwordx4 v[92:95], v222, s[16:19], 0 offen      // 000000004D1C: E05C1000 80045CDE
	v_mfma_scale_f32_16x16x128_f8f6f4 a[96:99], v[176:179], v[64:67], a[96:99], v210, v203 op_sel_hi:[0,0,0] cbsz:4 blgp:4// 000000004D24: D3AC6000 180397D2 D3AD8C60 858281B0
	v_mfma_scale_f32_16x16x128_f8f6f4 a[100:103], v[176:179], v[68:71], a[100:103], v210, v203 op_sel_hi:[0,0,0] cbsz:4 blgp:4// 000000004D34: D3AC7000 180397D2 D3AD8C64 859289B0
	buffer_load_dwordx4 v[96:99], v221, s[16:19], 0 offen offset:1024// 000000004D44: E05C1400 800460DD
	v_mfma_scale_f32_16x16x128_f8f6f4 a[104:107], v[180:183], v[64:67], a[104:107], v210, v203 op_sel_hi:[0,0,0] cbsz:4 blgp:4// 000000004D4C: D3AC6800 180397D2 D3AD8C68 85A281B4
	v_mfma_scale_f32_16x16x128_f8f6f4 a[108:111], v[180:183], v[68:71], a[108:111], v210, v203 op_sel_hi:[0,0,0] cbsz:4 blgp:4// 000000004D5C: D3AC7800 180397D2 D3AD8C6C 85B289B4
	buffer_load_dwordx4 v[100:103], v222, s[16:19], 0 offen offset:1024// 000000004D6C: E05C1400 800464DE
	buffer_load_dword v205, v236, s[24:27], 0 offen            // 000000004D74: E0501000 8006CDEC
	s_waitcnt vmcnt(10)                                        // 000000004D7C: BF8C0F7A
	s_barrier                                                  // 000000004D80: BF8A0000
	v_mfma_scale_f32_16x16x128_f8f6f4 a[112:115], v[184:187], v[56:59], a[112:115], v211, v203 op_sel_hi:[0,0,0] cbsz:4 blgp:4// 000000004D84: D3AC6000 000397D3 D3AD8C70 85C271B8
	s_addk_i32 s60, 0x100                                      // 000000004D94: B73C0100
	ds_read_b128 v[24:27], v214                                // 000000004D98: D9FE0000 180000D6
	v_mfma_scale_f32_16x16x128_f8f6f4 a[116:119], v[184:187], v[60:63], a[116:119], v211, v203 op_sel_hi:[0,0,0] cbsz:4 blgp:4// 000000004DA0: D3AC7000 000397D3 D3AD8C74 85D279B8
	s_cmp_lt_i32 s60, s61                                      // 000000004DB0: BF043D3C
	buffer_load_dwordx4 v[104:107], v223, s[16:19], 0 offen    // 000000004DB4: E05C1000 800468DF
	v_mfma_scale_f32_16x16x128_f8f6f4 a[120:123], v[188:191], v[56:59], a[120:123], v211, v203 op_sel_hi:[0,0,0] cbsz:4 blgp:4// 000000004DBC: D3AC6800 000397D3 D3AD8C78 85E271BC
	ds_read_b128 v[32:35], v214 offset:64                      // 000000004DCC: D9FE0040 200000D6
	v_mfma_scale_f32_16x16x128_f8f6f4 a[124:127], v[188:191], v[60:63], a[124:127], v211, v203 op_sel_hi:[0,0,0] cbsz:4 blgp:4// 000000004DD4: D3AC7800 000397D3 D3AD8C7C 85F279BC
	buffer_load_dwordx4 v[108:111], v224, s[16:19], 0 offen    // 000000004DE4: E05C1000 80046CE0
	v_mfma_scale_f32_16x16x128_f8f6f4 a[112:115], v[192:195], v[64:67], a[112:115], v211, v203 op_sel_hi:[0,0,0] cbsz:4 blgp:4// 000000004DEC: D3AC6000 180397D3 D3AD8C70 85C281C0
	ds_read_b128 v[28:31], v214 offset:512                     // 000000004DFC: D9FE0200 1C0000D6
	v_mfma_scale_f32_16x16x128_f8f6f4 a[116:119], v[192:195], v[68:71], a[116:119], v211, v203 op_sel_hi:[0,0,0] cbsz:4 blgp:4// 000000004E04: D3AC7000 180397D3 D3AD8C74 85D289C0
	buffer_load_dwordx4 v[112:115], v223, s[16:19], 0 offen offset:1024// 000000004E14: E05C1400 800470DF
	v_mfma_scale_f32_16x16x128_f8f6f4 a[120:123], v[196:199], v[64:67], a[120:123], v211, v203 op_sel_hi:[0,0,0] cbsz:4 blgp:4// 000000004E1C: D3AC6800 180397D3 D3AD8C78 85E281C4
	ds_read_b128 v[36:39], v214 offset:576                     // 000000004E2C: D9FE0240 240000D6
	v_mfma_scale_f32_16x16x128_f8f6f4 a[124:127], v[196:199], v[68:71], a[124:127], v211, v203 op_sel_hi:[0,0,0] cbsz:4 blgp:4// 000000004E34: D3AC7800 180397D3 D3AD8C7C 85F289C4
	buffer_load_dwordx4 v[116:119], v224, s[16:19], 0 offen offset:1024// 000000004E44: E05C1400 800474E0
	ds_read_b32 v201, v218 offset:1024                         // 000000004E4C: D86C0400 C90000DA
	buffer_load_dword v206, v237, s[24:27], 0 offen            // 000000004E54: E0501000 8006CEED
	s_cbranch_scc0 label_0EA8                                  // 000000004E5C: BF840610
	s_branch label_028A                                        // 000000004E60: BF82F9F1

0000000000004e64 <label_0899>:
	s_waitcnt vmcnt(10) lgkmcnt(5)                             // 000000004E64: BF8C057A
	v_mfma_scale_f32_16x16x128_f8f6f4 a[0:3], v[72:75], v[8:11], a[0:3], v204, v200 op_sel_hi:[0,0,0] cbsz:4 blgp:4// 000000004E68: D3AC6000 000391CC D3AD8C00 84021148
	buffer_load_dwordx4 v[120:123], v225, s[16:19], 0 offen    // 000000004E78: E05C1000 800478E1
	v_mfma_scale_f32_16x16x128_f8f6f4 a[4:7], v[72:75], v[12:15], a[4:7], v204, v200 op_sel_hi:[0,0,0] cbsz:4 blgp:4// 000000004E80: D3AC7000 000391CC D3AD8C04 84121948
	v_mfma_scale_f32_16x16x128_f8f6f4 a[8:11], v[76:79], v[8:11], a[8:11], v204, v200 op_sel_hi:[0,0,0] cbsz:4 blgp:4// 000000004E90: D3AC6800 000391CC D3AD8C08 8422114C
	buffer_load_dwordx4 v[124:127], v226, s[16:19], 0 offen    // 000000004EA0: E05C1000 80047CE2
	v_mfma_scale_f32_16x16x128_f8f6f4 a[12:15], v[76:79], v[12:15], a[12:15], v204, v200 op_sel_hi:[0,0,0] cbsz:4 blgp:4// 000000004EA8: D3AC7800 000391CC D3AD8C0C 8432194C
	v_mfma_scale_f32_16x16x128_f8f6f4 a[0:3], v[80:83], v[16:19], a[0:3], v204, v200 op_sel_hi:[0,0,0] cbsz:4 blgp:4// 000000004EB8: D3AC6000 180391CC D3AD8C00 84022150
	buffer_load_dwordx4 v[128:131], v225, s[16:19], 0 offen offset:1024// 000000004EC8: E05C1400 800480E1
	v_mfma_scale_f32_16x16x128_f8f6f4 a[4:7], v[80:83], v[20:23], a[4:7], v204, v200 op_sel_hi:[0,0,0] cbsz:4 blgp:4// 000000004ED0: D3AC7000 180391CC D3AD8C04 84122950
	v_mfma_scale_f32_16x16x128_f8f6f4 a[8:11], v[84:87], v[16:19], a[8:11], v204, v200 op_sel_hi:[0,0,0] cbsz:4 blgp:4// 000000004EE0: D3AC6800 180391CC D3AD8C08 84222154
	buffer_load_dwordx4 v[132:135], v226, s[16:19], 0 offen offset:1024// 000000004EF0: E05C1400 800484E2
	v_mfma_scale_f32_16x16x128_f8f6f4 a[12:15], v[84:87], v[20:23], a[12:15], v204, v200 op_sel_hi:[0,0,0] cbsz:4 blgp:4// 000000004EF8: D3AC7800 180391CC D3AD8C0C 84322954
	buffer_load_dword v207, v238, s[24:27], 0 offen            // 000000004F08: E0501000 8006CFEE
	s_waitcnt vmcnt(10)                                        // 000000004F10: BF8C0F7A
	v_mfma_scale_f32_16x16x128_f8f6f4 a[16:19], v[88:91], v[8:11], a[16:19], v205, v200 op_sel_hi:[0,0,0] cbsz:4 blgp:4// 000000004F14: D3AC6000 000391CD D3AD8C10 84421158
	buffer_load_dwordx4 v[136:139], v227, s[16:19], 0 offen    // 000000004F24: E05C1000 800488E3
	v_mfma_scale_f32_16x16x128_f8f6f4 a[20:23], v[88:91], v[12:15], a[20:23], v205, v200 op_sel_hi:[0,0,0] cbsz:4 blgp:4// 000000004F2C: D3AC7000 000391CD D3AD8C14 84521958
	v_mfma_scale_f32_16x16x128_f8f6f4 a[24:27], v[92:95], v[8:11], a[24:27], v205, v200 op_sel_hi:[0,0,0] cbsz:4 blgp:4// 000000004F3C: D3AC6800 000391CD D3AD8C18 8462115C
	buffer_load_dwordx4 v[140:143], v228, s[16:19], 0 offen    // 000000004F4C: E05C1000 80048CE4
	v_mfma_scale_f32_16x16x128_f8f6f4 a[28:31], v[92:95], v[12:15], a[28:31], v205, v200 op_sel_hi:[0,0,0] cbsz:4 blgp:4// 000000004F54: D3AC7800 000391CD D3AD8C1C 8472195C
	v_mfma_scale_f32_16x16x128_f8f6f4 a[16:19], v[96:99], v[16:19], a[16:19], v205, v200 op_sel_hi:[0,0,0] cbsz:4 blgp:4// 000000004F64: D3AC6000 180391CD D3AD8C10 84422160
	buffer_load_dwordx4 v[144:147], v227, s[16:19], 0 offen offset:1024// 000000004F74: E05C1400 800490E3
	v_mfma_scale_f32_16x16x128_f8f6f4 a[20:23], v[96:99], v[20:23], a[20:23], v205, v200 op_sel_hi:[0,0,0] cbsz:4 blgp:4// 000000004F7C: D3AC7000 180391CD D3AD8C14 84522960
	v_mfma_scale_f32_16x16x128_f8f6f4 a[24:27], v[100:103], v[16:19], a[24:27], v205, v200 op_sel_hi:[0,0,0] cbsz:4 blgp:4// 000000004F8C: D3AC6800 180391CD D3AD8C18 84622164
	buffer_load_dwordx4 v[148:151], v228, s[16:19], 0 offen offset:1024// 000000004F9C: E05C1400 800494E4
	v_mfma_scale_f32_16x16x128_f8f6f4 a[28:31], v[100:103], v[20:23], a[28:31], v205, v200 op_sel_hi:[0,0,0] cbsz:4 blgp:4// 000000004FA4: D3AC7800 180391CD D3AD8C1C 84722964
	buffer_load_dword v208, v239, s[24:27], 0 offen            // 000000004FB4: E0501000 8006D0EF
	s_waitcnt vmcnt(10)                                        // 000000004FBC: BF8C0F7A
	v_mfma_scale_f32_16x16x128_f8f6f4 a[32:35], v[104:107], v[8:11], a[32:35], v206, v200 op_sel_hi:[0,0,0] cbsz:4 blgp:4// 000000004FC0: D3AC6000 000391CE D3AD8C20 84821168
	buffer_load_dwordx4 v[152:155], v229, s[16:19], 0 offen    // 000000004FD0: E05C1000 800498E5
	v_mfma_scale_f32_16x16x128_f8f6f4 a[36:39], v[104:107], v[12:15], a[36:39], v206, v200 op_sel_hi:[0,0,0] cbsz:4 blgp:4// 000000004FD8: D3AC7000 000391CE D3AD8C24 84921968
	v_mfma_scale_f32_16x16x128_f8f6f4 a[40:43], v[108:111], v[8:11], a[40:43], v206, v200 op_sel_hi:[0,0,0] cbsz:4 blgp:4// 000000004FE8: D3AC6800 000391CE D3AD8C28 84A2116C
	buffer_load_dwordx4 v[156:159], v230, s[16:19], 0 offen    // 000000004FF8: E05C1000 80049CE6
	v_mfma_scale_f32_16x16x128_f8f6f4 a[44:47], v[108:111], v[12:15], a[44:47], v206, v200 op_sel_hi:[0,0,0] cbsz:4 blgp:4// 000000005000: D3AC7800 000391CE D3AD8C2C 84B2196C
	v_mfma_scale_f32_16x16x128_f8f6f4 a[32:35], v[112:115], v[16:19], a[32:35], v206, v200 op_sel_hi:[0,0,0] cbsz:4 blgp:4// 000000005010: D3AC6000 180391CE D3AD8C20 84822170
	buffer_load_dwordx4 v[160:163], v229, s[16:19], 0 offen offset:1024// 000000005020: E05C1400 8004A0E5
	v_mfma_scale_f32_16x16x128_f8f6f4 a[36:39], v[112:115], v[20:23], a[36:39], v206, v200 op_sel_hi:[0,0,0] cbsz:4 blgp:4// 000000005028: D3AC7000 180391CE D3AD8C24 84922970
	v_mfma_scale_f32_16x16x128_f8f6f4 a[40:43], v[116:119], v[16:19], a[40:43], v206, v200 op_sel_hi:[0,0,0] cbsz:4 blgp:4// 000000005038: D3AC6800 180391CE D3AD8C28 84A22174
	buffer_load_dwordx4 v[164:167], v230, s[16:19], 0 offen offset:1024// 000000005048: E05C1400 8004A4E6
	v_mfma_scale_f32_16x16x128_f8f6f4 a[44:47], v[116:119], v[20:23], a[44:47], v206, v200 op_sel_hi:[0,0,0] cbsz:4 blgp:4// 000000005050: D3AC7800 180391CE D3AD8C2C 84B22974
	buffer_load_dword v209, v240, s[24:27], 0 offen            // 000000005060: E0501000 8006D1F0
	s_waitcnt vmcnt(10)                                        // 000000005068: BF8C0F7A
	v_mfma_scale_f32_16x16x128_f8f6f4 a[48:51], v[120:123], v[8:11], a[48:51], v207, v200 op_sel_hi:[0,0,0] cbsz:4 blgp:4// 00000000506C: D3AC6000 000391CF D3AD8C30 84C21178
	buffer_load_dwordx4 v[168:171], v231, s[16:19], 0 offen    // 00000000507C: E05C1000 8004A8E7
	v_mfma_scale_f32_16x16x128_f8f6f4 a[52:55], v[120:123], v[12:15], a[52:55], v207, v200 op_sel_hi:[0,0,0] cbsz:4 blgp:4// 000000005084: D3AC7000 000391CF D3AD8C34 84D21978
	v_mfma_scale_f32_16x16x128_f8f6f4 a[56:59], v[124:127], v[8:11], a[56:59], v207, v200 op_sel_hi:[0,0,0] cbsz:4 blgp:4// 000000005094: D3AC6800 000391CF D3AD8C38 84E2117C
	buffer_load_dwordx4 v[172:175], v232, s[16:19], 0 offen    // 0000000050A4: E05C1000 8004ACE8
	v_mfma_scale_f32_16x16x128_f8f6f4 a[60:63], v[124:127], v[12:15], a[60:63], v207, v200 op_sel_hi:[0,0,0] cbsz:4 blgp:4// 0000000050AC: D3AC7800 000391CF D3AD8C3C 84F2197C
	v_mfma_scale_f32_16x16x128_f8f6f4 a[48:51], v[128:131], v[16:19], a[48:51], v207, v200 op_sel_hi:[0,0,0] cbsz:4 blgp:4// 0000000050BC: D3AC6000 180391CF D3AD8C30 84C22180
	buffer_load_dwordx4 v[176:179], v231, s[16:19], 0 offen offset:1024// 0000000050CC: E05C1400 8004B0E7
	v_mfma_scale_f32_16x16x128_f8f6f4 a[52:55], v[128:131], v[20:23], a[52:55], v207, v200 op_sel_hi:[0,0,0] cbsz:4 blgp:4// 0000000050D4: D3AC7000 180391CF D3AD8C34 84D22980
	v_mfma_scale_f32_16x16x128_f8f6f4 a[56:59], v[132:135], v[16:19], a[56:59], v207, v200 op_sel_hi:[0,0,0] cbsz:4 blgp:4// 0000000050E4: D3AC6800 180391CF D3AD8C38 84E22184
	buffer_load_dwordx4 v[180:183], v232, s[16:19], 0 offen offset:1024// 0000000050F4: E05C1400 8004B4E8
	v_mfma_scale_f32_16x16x128_f8f6f4 a[60:63], v[132:135], v[20:23], a[60:63], v207, v200 op_sel_hi:[0,0,0] cbsz:4 blgp:4// 0000000050FC: D3AC7800 180391CF D3AD8C3C 84F22984
	buffer_load_dword v210, v241, s[24:27], 0 offen            // 00000000510C: E0501000 8006D2F1
	s_waitcnt vmcnt(10)                                        // 000000005114: BF8C0F7A
	v_mfma_scale_f32_16x16x128_f8f6f4 a[64:67], v[136:139], v[8:11], a[64:67], v208, v200 op_sel_hi:[0,0,0] cbsz:4 blgp:4// 000000005118: D3AC6000 000391D0 D3AD8C40 85021188
	s_add_u32 s63, 0x100, s60                                  // 000000005128: 803F3CFF 00000100
	buffer_load_dwordx4 v[184:187], v233, s[16:19], 0 offen    // 000000005130: E05C1000 8004B8E9
	v_mfma_scale_f32_16x16x128_f8f6f4 a[68:71], v[136:139], v[12:15], a[68:71], v208, v200 op_sel_hi:[0,0,0] cbsz:4 blgp:4// 000000005138: D3AC7000 000391D0 D3AD8C44 85121988
	s_cmp_lt_u32 s63, s61                                      // 000000005148: BF0A3D3F
	s_cselect_b32 s67, s67, 0                                  // 00000000514C: 85438043
	v_mfma_scale_f32_16x16x128_f8f6f4 a[72:75], v[140:143], v[8:11], a[72:75], v208, v200 op_sel_hi:[0,0,0] cbsz:4 blgp:4// 000000005150: D3AC6800 000391D0 D3AD8C48 8522118C
	s_cselect_b32 s69, s69, 0                                  // 000000005160: 85458045
	buffer_load_dwordx4 v[188:191], v234, s[16:19], 0 offen    // 000000005164: E05C1000 8004BCEA
	v_mfma_scale_f32_16x16x128_f8f6f4 a[76:79], v[140:143], v[12:15], a[76:79], v208, v200 op_sel_hi:[0,0,0] cbsz:4 blgp:4// 00000000516C: D3AC7800 000391D0 D3AD8C4C 8532198C
	v_mfma_scale_f32_16x16x128_f8f6f4 a[64:67], v[144:147], v[16:19], a[64:67], v208, v200 op_sel_hi:[0,0,0] cbsz:4 blgp:4// 00000000517C: D3AC6000 180391D0 D3AD8C40 85022190
	buffer_load_dwordx4 v[192:195], v233, s[16:19], 0 offen offset:1024// 00000000518C: E05C1400 8004C0E9
	v_mfma_scale_f32_16x16x128_f8f6f4 a[68:71], v[144:147], v[20:23], a[68:71], v208, v200 op_sel_hi:[0,0,0] cbsz:4 blgp:4// 000000005194: D3AC7000 180391D0 D3AD8C44 85122990
	v_mfma_scale_f32_16x16x128_f8f6f4 a[72:75], v[148:151], v[16:19], a[72:75], v208, v200 op_sel_hi:[0,0,0] cbsz:4 blgp:4// 0000000051A4: D3AC6800 180391D0 D3AD8C48 85222194
	buffer_load_dwordx4 v[196:199], v234, s[16:19], 0 offen offset:1024// 0000000051B4: E05C1400 8004C4EA
	v_mfma_scale_f32_16x16x128_f8f6f4 a[76:79], v[148:151], v[20:23], a[76:79], v208, v200 op_sel_hi:[0,0,0] cbsz:4 blgp:4// 0000000051BC: D3AC7800 180391D0 D3AD8C4C 85322994
	buffer_load_dword v211, v242, s[24:27], 0 offen            // 0000000051CC: E0501000 8006D3F2
	s_add_u32 s16, s16, s67                                    // 0000000051D4: 80104310
	s_addc_u32 s17, 0, s17                                     // 0000000051D8: 82111180
	s_sub_u32 s18, s18, s67                                    // 0000000051DC: 80924312
	s_add_u32 s24, s24, s69                                    // 0000000051E0: 80184518
	s_addc_u32 s25, 0, s25                                     // 0000000051E4: 82191980
	s_sub_u32 s26, s26, s69                                    // 0000000051E8: 809A451A
	s_add_u32 m0, 0x800, s65                                   // 0000000051EC: 807C41FF 00000800
	buffer_load_dword v217, s[20:23], 0 offen lds              // 0000000051F4: E0511000 800500D9
	s_waitcnt vmcnt(11)                                        // 0000000051FC: BF8C0F7B
	v_mfma_scale_f32_16x16x128_f8f6f4 a[80:83], v[152:155], v[8:11], a[80:83], v209, v200 op_sel_hi:[0,0,0] cbsz:4 blgp:4// 000000005200: D3AC6000 000391D1 D3AD8C50 85421198
	s_add_u32 m0, 0x2100, s64                                  // 000000005210: 807C40FF 00002100
	buffer_load_dwordx4 v212, s[12:15], 0 offen lds            // 000000005218: E05D1000 800300D4
	v_mfma_scale_f32_16x16x128_f8f6f4 a[84:87], v[152:155], v[12:15], a[84:87], v209, v200 op_sel_hi:[0,0,0] cbsz:4 blgp:4// 000000005220: D3AC7000 000391D1 D3AD8C54 85521998
	s_add_u32 s62, 0x300, s60                                  // 000000005230: 803E3CFF 00000300
	s_cmp_lt_u32 s62, s61                                      // 000000005238: BF0A3D3E
	v_mfma_scale_f32_16x16x128_f8f6f4 a[88:91], v[156:159], v[8:11], a[88:91], v209, v200 op_sel_hi:[0,0,0] cbsz:4 blgp:4// 00000000523C: D3AC6800 000391D1 D3AD8C58 8562119C
	s_cselect_b32 s66, s66, 0                                  // 00000000524C: 85428042
	buffer_load_dwordx4 v[72:75], v219, s[16:19], 0 offen      // 000000005250: E05C1000 800448DB
	v_mfma_scale_f32_16x16x128_f8f6f4 a[92:95], v[156:159], v[12:15], a[92:95], v209, v200 op_sel_hi:[0,0,0] cbsz:4 blgp:4// 000000005258: D3AC7800 000391D1 D3AD8C5C 8572199C
	s_cselect_b32 s68, s68, 0                                  // 000000005268: 85448044
	s_add_u32 s12, s12, s66                                    // 00000000526C: 800C420C
	v_mfma_scale_f32_16x16x128_f8f6f4 a[80:83], v[160:163], v[16:19], a[80:83], v209, v200 op_sel_hi:[0,0,0] cbsz:4 blgp:4// 000000005270: D3AC6000 180391D1 D3AD8C50 854221A0
	s_addc_u32 s13, 0, s13                                     // 000000005280: 820D0D80
	buffer_load_dwordx4 v[76:79], v220, s[16:19], 0 offen      // 000000005284: E05C1000 80044CDC
	v_mfma_scale_f32_16x16x128_f8f6f4 a[84:87], v[160:163], v[20:23], a[84:87], v209, v200 op_sel_hi:[0,0,0] cbsz:4 blgp:4// 00000000528C: D3AC7000 180391D1 D3AD8C54 855229A0
	s_sub_u32 s14, s14, s66                                    // 00000000529C: 808E420E
	s_add_u32 s20, s20, s68                                    // 0000000052A0: 80144414
	v_mfma_scale_f32_16x16x128_f8f6f4 a[88:91], v[164:167], v[16:19], a[88:91], v209, v200 op_sel_hi:[0,0,0] cbsz:4 blgp:4// 0000000052A4: D3AC6800 180391D1 D3AD8C58 856221A4
	s_addc_u32 s21, 0, s21                                     // 0000000052B4: 82151580
	buffer_load_dwordx4 v[80:83], v219, s[16:19], 0 offen offset:1024// 0000000052B8: E05C1400 800450DB
	v_mfma_scale_f32_16x16x128_f8f6f4 a[92:95], v[164:167], v[20:23], a[92:95], v209, v200 op_sel_hi:[0,0,0] cbsz:4 blgp:4// 0000000052C0: D3AC7800 180391D1 D3AD8C5C 857229A4
	s_sub_u32 s22, s22, s68                                    // 0000000052D0: 80964416
	buffer_load_dwordx4 v[84:87], v220, s[16:19], 0 offen offset:1024// 0000000052D4: E05C1400 800454DC
	buffer_load_dword v204, v235, s[24:27], 0 offen            // 0000000052DC: E0501000 8006CCEB
	s_waitcnt vmcnt(12)                                        // 0000000052E4: BF8C0F7C
	v_mfma_scale_f32_16x16x128_f8f6f4 a[96:99], v[168:171], v[8:11], a[96:99], v210, v200 op_sel_hi:[0,0,0] cbsz:4 blgp:4// 0000000052E8: D3AC6000 000391D2 D3AD8C60 858211A8
	buffer_load_dwordx4 v[88:91], v221, s[16:19], 0 offen      // 0000000052F8: E05C1000 800458DD
	v_mfma_scale_f32_16x16x128_f8f6f4 a[100:103], v[168:171], v[12:15], a[100:103], v210, v200 op_sel_hi:[0,0,0] cbsz:4 blgp:4// 000000005300: D3AC7000 000391D2 D3AD8C64 859219A8
	v_mfma_scale_f32_16x16x128_f8f6f4 a[104:107], v[172:175], v[8:11], a[104:107], v210, v200 op_sel_hi:[0,0,0] cbsz:4 blgp:4// 000000005310: D3AC6800 000391D2 D3AD8C68 85A211AC
	buffer_load_dwordx4 v[92:95], v222, s[16:19], 0 offen      // 000000005320: E05C1000 80045CDE
	v_mfma_scale_f32_16x16x128_f8f6f4 a[108:111], v[172:175], v[12:15], a[108:111], v210, v200 op_sel_hi:[0,0,0] cbsz:4 blgp:4// 000000005328: D3AC7800 000391D2 D3AD8C6C 85B219AC
	v_mfma_scale_f32_16x16x128_f8f6f4 a[96:99], v[176:179], v[16:19], a[96:99], v210, v200 op_sel_hi:[0,0,0] cbsz:4 blgp:4// 000000005338: D3AC6000 180391D2 D3AD8C60 858221B0
	buffer_load_dwordx4 v[96:99], v221, s[16:19], 0 offen offset:1024// 000000005348: E05C1400 800460DD
	v_mfma_scale_f32_16x16x128_f8f6f4 a[100:103], v[176:179], v[20:23], a[100:103], v210, v200 op_sel_hi:[0,0,0] cbsz:4 blgp:4// 000000005350: D3AC7000 180391D2 D3AD8C64 859229B0
	v_mfma_scale_f32_16x16x128_f8f6f4 a[104:107], v[180:183], v[16:19], a[104:107], v210, v200 op_sel_hi:[0,0,0] cbsz:4 blgp:4// 000000005360: D3AC6800 180391D2 D3AD8C68 85A221B4
	buffer_load_dwordx4 v[100:103], v222, s[16:19], 0 offen offset:1024// 000000005370: E05C1400 800464DE
	v_mfma_scale_f32_16x16x128_f8f6f4 a[108:111], v[180:183], v[20:23], a[108:111], v210, v200 op_sel_hi:[0,0,0] cbsz:4 blgp:4// 000000005378: D3AC7800 180391D2 D3AD8C6C 85B229B4
	buffer_load_dword v205, v236, s[24:27], 0 offen            // 000000005388: E0501000 8006CDEC
	s_waitcnt vmcnt(10)                                        // 000000005390: BF8C0F7A
	s_barrier                                                  // 000000005394: BF8A0000
	v_mfma_scale_f32_16x16x128_f8f6f4 a[112:115], v[184:187], v[8:11], a[112:115], v211, v200 op_sel_hi:[0,0,0] cbsz:4 blgp:4// 000000005398: D3AC6000 000391D3 D3AD8C70 85C211B8
	s_addk_i32 s60, 0x100                                      // 0000000053A8: B73C0100
	buffer_load_dwordx4 v[104:107], v223, s[16:19], 0 offen    // 0000000053AC: E05C1000 800468DF
	v_mfma_scale_f32_16x16x128_f8f6f4 a[116:119], v[184:187], v[12:15], a[116:119], v211, v200 op_sel_hi:[0,0,0] cbsz:4 blgp:4// 0000000053B4: D3AC7000 000391D3 D3AD8C74 85D219B8
	s_cmp_lt_i32 s60, s61                                      // 0000000053C4: BF043D3C
	ds_read_b128 v[40:43], v215                                // 0000000053C8: D9FE0000 280000D7
	v_mfma_scale_f32_16x16x128_f8f6f4 a[120:123], v[188:191], v[8:11], a[120:123], v211, v200 op_sel_hi:[0,0,0] cbsz:4 blgp:4// 0000000053D0: D3AC6800 000391D3 D3AD8C78 85E211BC
	buffer_load_dwordx4 v[108:111], v224, s[16:19], 0 offen    // 0000000053E0: E05C1000 80046CE0
	v_mfma_scale_f32_16x16x128_f8f6f4 a[124:127], v[188:191], v[12:15], a[124:127], v211, v200 op_sel_hi:[0,0,0] cbsz:4 blgp:4// 0000000053E8: D3AC7800 000391D3 D3AD8C7C 85F219BC
	ds_read_b128 v[48:51], v215 offset:64                      // 0000000053F8: D9FE0040 300000D7
	v_mfma_scale_f32_16x16x128_f8f6f4 a[112:115], v[192:195], v[16:19], a[112:115], v211, v200 op_sel_hi:[0,0,0] cbsz:4 blgp:4// 000000005400: D3AC6000 180391D3 D3AD8C70 85C221C0
	buffer_load_dwordx4 v[112:115], v223, s[16:19], 0 offen offset:1024// 000000005410: E05C1400 800470DF
	v_mfma_scale_f32_16x16x128_f8f6f4 a[116:119], v[192:195], v[20:23], a[116:119], v211, v200 op_sel_hi:[0,0,0] cbsz:4 blgp:4// 000000005418: D3AC7000 180391D3 D3AD8C74 85D229C0
	ds_read_b128 v[44:47], v215 offset:512                     // 000000005428: D9FE0200 2C0000D7
	v_mfma_scale_f32_16x16x128_f8f6f4 a[120:123], v[196:199], v[16:19], a[120:123], v211, v200 op_sel_hi:[0,0,0] cbsz:4 blgp:4// 000000005430: D3AC6800 180391D3 D3AD8C78 85E221C4
	buffer_load_dwordx4 v[116:119], v224, s[16:19], 0 offen offset:1024// 000000005440: E05C1400 800474E0
	v_mfma_scale_f32_16x16x128_f8f6f4 a[124:127], v[196:199], v[20:23], a[124:127], v211, v200 op_sel_hi:[0,0,0] cbsz:4 blgp:4// 000000005448: D3AC7800 180391D3 D3AD8C7C 85F229C4
	ds_read_b128 v[52:55], v215 offset:576                     // 000000005458: D9FE0240 340000D7
	ds_read_b32 v202, v218 offset:2048                         // 000000005460: D86C0800 CA0000DA
	buffer_load_dword v206, v237, s[24:27], 0 offen            // 000000005468: E0501000 8006CEED
	s_cbranch_scc0 label_0EA8                                  // 000000005470: BF84048B
	s_waitcnt vmcnt(10) lgkmcnt(5)                             // 000000005474: BF8C057A
	v_mfma_scale_f32_16x16x128_f8f6f4 a[0:3], v[72:75], v[24:27], a[0:3], v204, v201 op_sel_hi:[0,0,0] cbsz:4 blgp:4// 000000005478: D3AC6000 000393CC D3AD8C00 84023148
	buffer_load_dwordx4 v[120:123], v225, s[16:19], 0 offen    // 000000005488: E05C1000 800478E1
	v_mfma_scale_f32_16x16x128_f8f6f4 a[4:7], v[72:75], v[28:31], a[4:7], v204, v201 op_sel_hi:[0,0,0] cbsz:4 blgp:4// 000000005490: D3AC7000 000393CC D3AD8C04 84123948
	v_mfma_scale_f32_16x16x128_f8f6f4 a[8:11], v[76:79], v[24:27], a[8:11], v204, v201 op_sel_hi:[0,0,0] cbsz:4 blgp:4// 0000000054A0: D3AC6800 000393CC D3AD8C08 8422314C
	buffer_load_dwordx4 v[124:127], v226, s[16:19], 0 offen    // 0000000054B0: E05C1000 80047CE2
	v_mfma_scale_f32_16x16x128_f8f6f4 a[12:15], v[76:79], v[28:31], a[12:15], v204, v201 op_sel_hi:[0,0,0] cbsz:4 blgp:4// 0000000054B8: D3AC7800 000393CC D3AD8C0C 8432394C
	v_mfma_scale_f32_16x16x128_f8f6f4 a[0:3], v[80:83], v[32:35], a[0:3], v204, v201 op_sel_hi:[0,0,0] cbsz:4 blgp:4// 0000000054C8: D3AC6000 180393CC D3AD8C00 84024150
	buffer_load_dwordx4 v[128:131], v225, s[16:19], 0 offen offset:1024// 0000000054D8: E05C1400 800480E1
	v_mfma_scale_f32_16x16x128_f8f6f4 a[4:7], v[80:83], v[36:39], a[4:7], v204, v201 op_sel_hi:[0,0,0] cbsz:4 blgp:4// 0000000054E0: D3AC7000 180393CC D3AD8C04 84124950
	v_mfma_scale_f32_16x16x128_f8f6f4 a[8:11], v[84:87], v[32:35], a[8:11], v204, v201 op_sel_hi:[0,0,0] cbsz:4 blgp:4// 0000000054F0: D3AC6800 180393CC D3AD8C08 84224154
	buffer_load_dwordx4 v[132:135], v226, s[16:19], 0 offen offset:1024// 000000005500: E05C1400 800484E2
	v_mfma_scale_f32_16x16x128_f8f6f4 a[12:15], v[84:87], v[36:39], a[12:15], v204, v201 op_sel_hi:[0,0,0] cbsz:4 blgp:4// 000000005508: D3AC7800 180393CC D3AD8C0C 84324954
	buffer_load_dword v207, v238, s[24:27], 0 offen            // 000000005518: E0501000 8006CFEE
	s_waitcnt vmcnt(10)                                        // 000000005520: BF8C0F7A
	v_mfma_scale_f32_16x16x128_f8f6f4 a[16:19], v[88:91], v[24:27], a[16:19], v205, v201 op_sel_hi:[0,0,0] cbsz:4 blgp:4// 000000005524: D3AC6000 000393CD D3AD8C10 84423158
	buffer_load_dwordx4 v[136:139], v227, s[16:19], 0 offen    // 000000005534: E05C1000 800488E3
	v_mfma_scale_f32_16x16x128_f8f6f4 a[20:23], v[88:91], v[28:31], a[20:23], v205, v201 op_sel_hi:[0,0,0] cbsz:4 blgp:4// 00000000553C: D3AC7000 000393CD D3AD8C14 84523958
	v_mfma_scale_f32_16x16x128_f8f6f4 a[24:27], v[92:95], v[24:27], a[24:27], v205, v201 op_sel_hi:[0,0,0] cbsz:4 blgp:4// 00000000554C: D3AC6800 000393CD D3AD8C18 8462315C
	buffer_load_dwordx4 v[140:143], v228, s[16:19], 0 offen    // 00000000555C: E05C1000 80048CE4
	v_mfma_scale_f32_16x16x128_f8f6f4 a[28:31], v[92:95], v[28:31], a[28:31], v205, v201 op_sel_hi:[0,0,0] cbsz:4 blgp:4// 000000005564: D3AC7800 000393CD D3AD8C1C 8472395C
	v_mfma_scale_f32_16x16x128_f8f6f4 a[16:19], v[96:99], v[32:35], a[16:19], v205, v201 op_sel_hi:[0,0,0] cbsz:4 blgp:4// 000000005574: D3AC6000 180393CD D3AD8C10 84424160
	buffer_load_dwordx4 v[144:147], v227, s[16:19], 0 offen offset:1024// 000000005584: E05C1400 800490E3
	v_mfma_scale_f32_16x16x128_f8f6f4 a[20:23], v[96:99], v[36:39], a[20:23], v205, v201 op_sel_hi:[0,0,0] cbsz:4 blgp:4// 00000000558C: D3AC7000 180393CD D3AD8C14 84524960
	v_mfma_scale_f32_16x16x128_f8f6f4 a[24:27], v[100:103], v[32:35], a[24:27], v205, v201 op_sel_hi:[0,0,0] cbsz:4 blgp:4// 00000000559C: D3AC6800 180393CD D3AD8C18 84624164
	buffer_load_dwordx4 v[148:151], v228, s[16:19], 0 offen offset:1024// 0000000055AC: E05C1400 800494E4
	v_mfma_scale_f32_16x16x128_f8f6f4 a[28:31], v[100:103], v[36:39], a[28:31], v205, v201 op_sel_hi:[0,0,0] cbsz:4 blgp:4// 0000000055B4: D3AC7800 180393CD D3AD8C1C 84724964
	buffer_load_dword v208, v239, s[24:27], 0 offen            // 0000000055C4: E0501000 8006D0EF
	s_waitcnt vmcnt(10)                                        // 0000000055CC: BF8C0F7A
	v_mfma_scale_f32_16x16x128_f8f6f4 a[32:35], v[104:107], v[24:27], a[32:35], v206, v201 op_sel_hi:[0,0,0] cbsz:4 blgp:4// 0000000055D0: D3AC6000 000393CE D3AD8C20 84823168
	buffer_load_dwordx4 v[152:155], v229, s[16:19], 0 offen    // 0000000055E0: E05C1000 800498E5
	v_mfma_scale_f32_16x16x128_f8f6f4 a[36:39], v[104:107], v[28:31], a[36:39], v206, v201 op_sel_hi:[0,0,0] cbsz:4 blgp:4// 0000000055E8: D3AC7000 000393CE D3AD8C24 84923968
	v_mfma_scale_f32_16x16x128_f8f6f4 a[40:43], v[108:111], v[24:27], a[40:43], v206, v201 op_sel_hi:[0,0,0] cbsz:4 blgp:4// 0000000055F8: D3AC6800 000393CE D3AD8C28 84A2316C
	buffer_load_dwordx4 v[156:159], v230, s[16:19], 0 offen    // 000000005608: E05C1000 80049CE6
	v_mfma_scale_f32_16x16x128_f8f6f4 a[44:47], v[108:111], v[28:31], a[44:47], v206, v201 op_sel_hi:[0,0,0] cbsz:4 blgp:4// 000000005610: D3AC7800 000393CE D3AD8C2C 84B2396C
	v_mfma_scale_f32_16x16x128_f8f6f4 a[32:35], v[112:115], v[32:35], a[32:35], v206, v201 op_sel_hi:[0,0,0] cbsz:4 blgp:4// 000000005620: D3AC6000 180393CE D3AD8C20 84824170
	buffer_load_dwordx4 v[160:163], v229, s[16:19], 0 offen offset:1024// 000000005630: E05C1400 8004A0E5
	v_mfma_scale_f32_16x16x128_f8f6f4 a[36:39], v[112:115], v[36:39], a[36:39], v206, v201 op_sel_hi:[0,0,0] cbsz:4 blgp:4// 000000005638: D3AC7000 180393CE D3AD8C24 84924970
	v_mfma_scale_f32_16x16x128_f8f6f4 a[40:43], v[116:119], v[32:35], a[40:43], v206, v201 op_sel_hi:[0,0,0] cbsz:4 blgp:4// 000000005648: D3AC6800 180393CE D3AD8C28 84A24174
	buffer_load_dwordx4 v[164:167], v230, s[16:19], 0 offen offset:1024// 000000005658: E05C1400 8004A4E6
	v_mfma_scale_f32_16x16x128_f8f6f4 a[44:47], v[116:119], v[36:39], a[44:47], v206, v201 op_sel_hi:[0,0,0] cbsz:4 blgp:4// 000000005660: D3AC7800 180393CE D3AD8C2C 84B24974
	buffer_load_dword v209, v240, s[24:27], 0 offen            // 000000005670: E0501000 8006D1F0
	s_waitcnt vmcnt(10)                                        // 000000005678: BF8C0F7A
	v_mfma_scale_f32_16x16x128_f8f6f4 a[48:51], v[120:123], v[24:27], a[48:51], v207, v201 op_sel_hi:[0,0,0] cbsz:4 blgp:4// 00000000567C: D3AC6000 000393CF D3AD8C30 84C23178
	buffer_load_dwordx4 v[168:171], v231, s[16:19], 0 offen    // 00000000568C: E05C1000 8004A8E7
	v_mfma_scale_f32_16x16x128_f8f6f4 a[52:55], v[120:123], v[28:31], a[52:55], v207, v201 op_sel_hi:[0,0,0] cbsz:4 blgp:4// 000000005694: D3AC7000 000393CF D3AD8C34 84D23978
	v_mfma_scale_f32_16x16x128_f8f6f4 a[56:59], v[124:127], v[24:27], a[56:59], v207, v201 op_sel_hi:[0,0,0] cbsz:4 blgp:4// 0000000056A4: D3AC6800 000393CF D3AD8C38 84E2317C
	buffer_load_dwordx4 v[172:175], v232, s[16:19], 0 offen    // 0000000056B4: E05C1000 8004ACE8
	v_mfma_scale_f32_16x16x128_f8f6f4 a[60:63], v[124:127], v[28:31], a[60:63], v207, v201 op_sel_hi:[0,0,0] cbsz:4 blgp:4// 0000000056BC: D3AC7800 000393CF D3AD8C3C 84F2397C
	v_mfma_scale_f32_16x16x128_f8f6f4 a[48:51], v[128:131], v[32:35], a[48:51], v207, v201 op_sel_hi:[0,0,0] cbsz:4 blgp:4// 0000000056CC: D3AC6000 180393CF D3AD8C30 84C24180
	buffer_load_dwordx4 v[176:179], v231, s[16:19], 0 offen offset:1024// 0000000056DC: E05C1400 8004B0E7
	v_mfma_scale_f32_16x16x128_f8f6f4 a[52:55], v[128:131], v[36:39], a[52:55], v207, v201 op_sel_hi:[0,0,0] cbsz:4 blgp:4// 0000000056E4: D3AC7000 180393CF D3AD8C34 84D24980
	v_mfma_scale_f32_16x16x128_f8f6f4 a[56:59], v[132:135], v[32:35], a[56:59], v207, v201 op_sel_hi:[0,0,0] cbsz:4 blgp:4// 0000000056F4: D3AC6800 180393CF D3AD8C38 84E24184
	buffer_load_dwordx4 v[180:183], v232, s[16:19], 0 offen offset:1024// 000000005704: E05C1400 8004B4E8
	v_mfma_scale_f32_16x16x128_f8f6f4 a[60:63], v[132:135], v[36:39], a[60:63], v207, v201 op_sel_hi:[0,0,0] cbsz:4 blgp:4// 00000000570C: D3AC7800 180393CF D3AD8C3C 84F24984
	buffer_load_dword v210, v241, s[24:27], 0 offen            // 00000000571C: E0501000 8006D2F1
	s_waitcnt vmcnt(10)                                        // 000000005724: BF8C0F7A
	v_mfma_scale_f32_16x16x128_f8f6f4 a[64:67], v[136:139], v[24:27], a[64:67], v208, v201 op_sel_hi:[0,0,0] cbsz:4 blgp:4// 000000005728: D3AC6000 000393D0 D3AD8C40 85023188
	s_add_u32 s63, 0x100, s60                                  // 000000005738: 803F3CFF 00000100
	buffer_load_dwordx4 v[184:187], v233, s[16:19], 0 offen    // 000000005740: E05C1000 8004B8E9
	v_mfma_scale_f32_16x16x128_f8f6f4 a[68:71], v[136:139], v[28:31], a[68:71], v208, v201 op_sel_hi:[0,0,0] cbsz:4 blgp:4// 000000005748: D3AC7000 000393D0 D3AD8C44 85123988
	s_cmp_lt_u32 s63, s61                                      // 000000005758: BF0A3D3F
	s_cselect_b32 s67, s67, 0                                  // 00000000575C: 85438043
	v_mfma_scale_f32_16x16x128_f8f6f4 a[72:75], v[140:143], v[24:27], a[72:75], v208, v201 op_sel_hi:[0,0,0] cbsz:4 blgp:4// 000000005760: D3AC6800 000393D0 D3AD8C48 8522318C
	s_cselect_b32 s69, s69, 0                                  // 000000005770: 85458045
	buffer_load_dwordx4 v[188:191], v234, s[16:19], 0 offen    // 000000005774: E05C1000 8004BCEA
	v_mfma_scale_f32_16x16x128_f8f6f4 a[76:79], v[140:143], v[28:31], a[76:79], v208, v201 op_sel_hi:[0,0,0] cbsz:4 blgp:4// 00000000577C: D3AC7800 000393D0 D3AD8C4C 8532398C
	v_mfma_scale_f32_16x16x128_f8f6f4 a[64:67], v[144:147], v[32:35], a[64:67], v208, v201 op_sel_hi:[0,0,0] cbsz:4 blgp:4// 00000000578C: D3AC6000 180393D0 D3AD8C40 85024190
	buffer_load_dwordx4 v[192:195], v233, s[16:19], 0 offen offset:1024// 00000000579C: E05C1400 8004C0E9
	v_mfma_scale_f32_16x16x128_f8f6f4 a[68:71], v[144:147], v[36:39], a[68:71], v208, v201 op_sel_hi:[0,0,0] cbsz:4 blgp:4// 0000000057A4: D3AC7000 180393D0 D3AD8C44 85124990
	v_mfma_scale_f32_16x16x128_f8f6f4 a[72:75], v[148:151], v[32:35], a[72:75], v208, v201 op_sel_hi:[0,0,0] cbsz:4 blgp:4// 0000000057B4: D3AC6800 180393D0 D3AD8C48 85224194
	buffer_load_dwordx4 v[196:199], v234, s[16:19], 0 offen offset:1024// 0000000057C4: E05C1400 8004C4EA
	v_mfma_scale_f32_16x16x128_f8f6f4 a[76:79], v[148:151], v[36:39], a[76:79], v208, v201 op_sel_hi:[0,0,0] cbsz:4 blgp:4// 0000000057CC: D3AC7800 180393D0 D3AD8C4C 85324994
	buffer_load_dword v211, v242, s[24:27], 0 offen            // 0000000057DC: E0501000 8006D3F2
	s_add_u32 s16, s16, s67                                    // 0000000057E4: 80104310
	s_addc_u32 s17, 0, s17                                     // 0000000057E8: 82111180
	s_sub_u32 s18, s18, s67                                    // 0000000057EC: 80924312
	s_add_u32 s24, s24, s69                                    // 0000000057F0: 80184518
	s_addc_u32 s25, 0, s25                                     // 0000000057F4: 82191980
	s_sub_u32 s26, s26, s69                                    // 0000000057F8: 809A451A
	s_add_u32 m0, 0xc00, s65                                   // 0000000057FC: 807C41FF 00000C00
	buffer_load_dword v217, s[20:23], 0 offen lds              // 000000005804: E0511000 800500D9
	s_waitcnt vmcnt(11)                                        // 00000000580C: BF8C0F7B
	v_mfma_scale_f32_16x16x128_f8f6f4 a[80:83], v[152:155], v[24:27], a[80:83], v209, v201 op_sel_hi:[0,0,0] cbsz:4 blgp:4// 000000005810: D3AC6000 000393D1 D3AD8C50 85423198
	s_add_u32 m0, 0x3180, s64                                  // 000000005820: 807C40FF 00003180
	buffer_load_dwordx4 v212, s[12:15], 0 offen lds            // 000000005828: E05D1000 800300D4
	v_mfma_scale_f32_16x16x128_f8f6f4 a[84:87], v[152:155], v[28:31], a[84:87], v209, v201 op_sel_hi:[0,0,0] cbsz:4 blgp:4// 000000005830: D3AC7000 000393D1 D3AD8C54 85523998
	s_add_u32 s62, 0x300, s60                                  // 000000005840: 803E3CFF 00000300
	s_cmp_lt_u32 s62, s61                                      // 000000005848: BF0A3D3E
	v_mfma_scale_f32_16x16x128_f8f6f4 a[88:91], v[156:159], v[24:27], a[88:91], v209, v201 op_sel_hi:[0,0,0] cbsz:4 blgp:4// 00000000584C: D3AC6800 000393D1 D3AD8C58 8562319C
	s_cselect_b32 s66, s66, 0                                  // 00000000585C: 85428042
	buffer_load_dwordx4 v[72:75], v219, s[16:19], 0 offen      // 000000005860: E05C1000 800448DB
	v_mfma_scale_f32_16x16x128_f8f6f4 a[92:95], v[156:159], v[28:31], a[92:95], v209, v201 op_sel_hi:[0,0,0] cbsz:4 blgp:4// 000000005868: D3AC7800 000393D1 D3AD8C5C 8572399C
	s_cselect_b32 s68, s68, 0                                  // 000000005878: 85448044
	s_add_u32 s12, s12, s66                                    // 00000000587C: 800C420C
	v_mfma_scale_f32_16x16x128_f8f6f4 a[80:83], v[160:163], v[32:35], a[80:83], v209, v201 op_sel_hi:[0,0,0] cbsz:4 blgp:4// 000000005880: D3AC6000 180393D1 D3AD8C50 854241A0
	s_addc_u32 s13, 0, s13                                     // 000000005890: 820D0D80
	buffer_load_dwordx4 v[76:79], v220, s[16:19], 0 offen      // 000000005894: E05C1000 80044CDC
	v_mfma_scale_f32_16x16x128_f8f6f4 a[84:87], v[160:163], v[36:39], a[84:87], v209, v201 op_sel_hi:[0,0,0] cbsz:4 blgp:4// 00000000589C: D3AC7000 180393D1 D3AD8C54 855249A0
	s_sub_u32 s14, s14, s66                                    // 0000000058AC: 808E420E
	s_add_u32 s20, s20, s68                                    // 0000000058B0: 80144414
	v_mfma_scale_f32_16x16x128_f8f6f4 a[88:91], v[164:167], v[32:35], a[88:91], v209, v201 op_sel_hi:[0,0,0] cbsz:4 blgp:4// 0000000058B4: D3AC6800 180393D1 D3AD8C58 856241A4
	s_addc_u32 s21, 0, s21                                     // 0000000058C4: 82151580
	buffer_load_dwordx4 v[80:83], v219, s[16:19], 0 offen offset:1024// 0000000058C8: E05C1400 800450DB
	v_mfma_scale_f32_16x16x128_f8f6f4 a[92:95], v[164:167], v[36:39], a[92:95], v209, v201 op_sel_hi:[0,0,0] cbsz:4 blgp:4// 0000000058D0: D3AC7800 180393D1 D3AD8C5C 857249A4
	s_sub_u32 s22, s22, s68                                    // 0000000058E0: 80964416
	buffer_load_dwordx4 v[84:87], v220, s[16:19], 0 offen offset:1024// 0000000058E4: E05C1400 800454DC
	buffer_load_dword v204, v235, s[24:27], 0 offen            // 0000000058EC: E0501000 8006CCEB
	s_waitcnt vmcnt(12)                                        // 0000000058F4: BF8C0F7C
	v_mfma_scale_f32_16x16x128_f8f6f4 a[96:99], v[168:171], v[24:27], a[96:99], v210, v201 op_sel_hi:[0,0,0] cbsz:4 blgp:4// 0000000058F8: D3AC6000 000393D2 D3AD8C60 858231A8
	buffer_load_dwordx4 v[88:91], v221, s[16:19], 0 offen      // 000000005908: E05C1000 800458DD
	v_mfma_scale_f32_16x16x128_f8f6f4 a[100:103], v[168:171], v[28:31], a[100:103], v210, v201 op_sel_hi:[0,0,0] cbsz:4 blgp:4// 000000005910: D3AC7000 000393D2 D3AD8C64 859239A8
	v_mfma_scale_f32_16x16x128_f8f6f4 a[104:107], v[172:175], v[24:27], a[104:107], v210, v201 op_sel_hi:[0,0,0] cbsz:4 blgp:4// 000000005920: D3AC6800 000393D2 D3AD8C68 85A231AC
	buffer_load_dwordx4 v[92:95], v222, s[16:19], 0 offen      // 000000005930: E05C1000 80045CDE
	v_mfma_scale_f32_16x16x128_f8f6f4 a[108:111], v[172:175], v[28:31], a[108:111], v210, v201 op_sel_hi:[0,0,0] cbsz:4 blgp:4// 000000005938: D3AC7800 000393D2 D3AD8C6C 85B239AC
	v_mfma_scale_f32_16x16x128_f8f6f4 a[96:99], v[176:179], v[32:35], a[96:99], v210, v201 op_sel_hi:[0,0,0] cbsz:4 blgp:4// 000000005948: D3AC6000 180393D2 D3AD8C60 858241B0
	buffer_load_dwordx4 v[96:99], v221, s[16:19], 0 offen offset:1024// 000000005958: E05C1400 800460DD
	v_mfma_scale_f32_16x16x128_f8f6f4 a[100:103], v[176:179], v[36:39], a[100:103], v210, v201 op_sel_hi:[0,0,0] cbsz:4 blgp:4// 000000005960: D3AC7000 180393D2 D3AD8C64 859249B0
	v_mfma_scale_f32_16x16x128_f8f6f4 a[104:107], v[180:183], v[32:35], a[104:107], v210, v201 op_sel_hi:[0,0,0] cbsz:4 blgp:4// 000000005970: D3AC6800 180393D2 D3AD8C68 85A241B4
	buffer_load_dwordx4 v[100:103], v222, s[16:19], 0 offen offset:1024// 000000005980: E05C1400 800464DE
	v_mfma_scale_f32_16x16x128_f8f6f4 a[108:111], v[180:183], v[36:39], a[108:111], v210, v201 op_sel_hi:[0,0,0] cbsz:4 blgp:4// 000000005988: D3AC7800 180393D2 D3AD8C6C 85B249B4
	buffer_load_dword v205, v236, s[24:27], 0 offen            // 000000005998: E0501000 8006CDEC
	s_waitcnt vmcnt(10)                                        // 0000000059A0: BF8C0F7A
	s_barrier                                                  // 0000000059A4: BF8A0000
	v_mfma_scale_f32_16x16x128_f8f6f4 a[112:115], v[184:187], v[24:27], a[112:115], v211, v201 op_sel_hi:[0,0,0] cbsz:4 blgp:4// 0000000059A8: D3AC6000 000393D3 D3AD8C70 85C231B8
	s_addk_i32 s60, 0x100                                      // 0000000059B8: B73C0100
	buffer_load_dwordx4 v[104:107], v223, s[16:19], 0 offen    // 0000000059BC: E05C1000 800468DF
	v_mfma_scale_f32_16x16x128_f8f6f4 a[116:119], v[184:187], v[28:31], a[116:119], v211, v201 op_sel_hi:[0,0,0] cbsz:4 blgp:4// 0000000059C4: D3AC7000 000393D3 D3AD8C74 85D239B8
	s_cmp_lt_i32 s60, s61                                      // 0000000059D4: BF043D3C
	ds_read_b128 v[56:59], v216                                // 0000000059D8: D9FE0000 380000D8
	v_mfma_scale_f32_16x16x128_f8f6f4 a[120:123], v[188:191], v[24:27], a[120:123], v211, v201 op_sel_hi:[0,0,0] cbsz:4 blgp:4// 0000000059E0: D3AC6800 000393D3 D3AD8C78 85E231BC
	buffer_load_dwordx4 v[108:111], v224, s[16:19], 0 offen    // 0000000059F0: E05C1000 80046CE0
	v_mfma_scale_f32_16x16x128_f8f6f4 a[124:127], v[188:191], v[28:31], a[124:127], v211, v201 op_sel_hi:[0,0,0] cbsz:4 blgp:4// 0000000059F8: D3AC7800 000393D3 D3AD8C7C 85F239BC
	ds_read_b128 v[64:67], v216 offset:64                      // 000000005A08: D9FE0040 400000D8
	v_mfma_scale_f32_16x16x128_f8f6f4 a[112:115], v[192:195], v[32:35], a[112:115], v211, v201 op_sel_hi:[0,0,0] cbsz:4 blgp:4// 000000005A10: D3AC6000 180393D3 D3AD8C70 85C241C0
	buffer_load_dwordx4 v[112:115], v223, s[16:19], 0 offen offset:1024// 000000005A20: E05C1400 800470DF
	v_mfma_scale_f32_16x16x128_f8f6f4 a[116:119], v[192:195], v[36:39], a[116:119], v211, v201 op_sel_hi:[0,0,0] cbsz:4 blgp:4// 000000005A28: D3AC7000 180393D3 D3AD8C74 85D249C0
	ds_read_b128 v[60:63], v216 offset:512                     // 000000005A38: D9FE0200 3C0000D8
	v_mfma_scale_f32_16x16x128_f8f6f4 a[120:123], v[196:199], v[32:35], a[120:123], v211, v201 op_sel_hi:[0,0,0] cbsz:4 blgp:4// 000000005A40: D3AC6800 180393D3 D3AD8C78 85E241C4
	buffer_load_dwordx4 v[116:119], v224, s[16:19], 0 offen offset:1024// 000000005A50: E05C1400 800474E0
	v_mfma_scale_f32_16x16x128_f8f6f4 a[124:127], v[196:199], v[36:39], a[124:127], v211, v201 op_sel_hi:[0,0,0] cbsz:4 blgp:4// 000000005A58: D3AC7800 180393D3 D3AD8C7C 85F249C4
	ds_read_b128 v[68:71], v216 offset:576                     // 000000005A68: D9FE0240 440000D8
	ds_read_b32 v203, v218 offset:3072                         // 000000005A70: D86C0C00 CB0000DA
	buffer_load_dword v206, v237, s[24:27], 0 offen            // 000000005A78: E0501000 8006CEED
	s_cbranch_scc0 label_0EA8                                  // 000000005A80: BF840307
	s_waitcnt vmcnt(10) lgkmcnt(5)                             // 000000005A84: BF8C057A
	v_mfma_scale_f32_16x16x128_f8f6f4 a[0:3], v[72:75], v[40:43], a[0:3], v204, v202 op_sel_hi:[0,0,0] cbsz:4 blgp:4// 000000005A88: D3AC6000 000395CC D3AD8C00 84025148
	buffer_load_dwordx4 v[120:123], v225, s[16:19], 0 offen    // 000000005A98: E05C1000 800478E1
	v_mfma_scale_f32_16x16x128_f8f6f4 a[4:7], v[72:75], v[44:47], a[4:7], v204, v202 op_sel_hi:[0,0,0] cbsz:4 blgp:4// 000000005AA0: D3AC7000 000395CC D3AD8C04 84125948
	v_mfma_scale_f32_16x16x128_f8f6f4 a[8:11], v[76:79], v[40:43], a[8:11], v204, v202 op_sel_hi:[0,0,0] cbsz:4 blgp:4// 000000005AB0: D3AC6800 000395CC D3AD8C08 8422514C
	buffer_load_dwordx4 v[124:127], v226, s[16:19], 0 offen    // 000000005AC0: E05C1000 80047CE2
	v_mfma_scale_f32_16x16x128_f8f6f4 a[12:15], v[76:79], v[44:47], a[12:15], v204, v202 op_sel_hi:[0,0,0] cbsz:4 blgp:4// 000000005AC8: D3AC7800 000395CC D3AD8C0C 8432594C
	v_mfma_scale_f32_16x16x128_f8f6f4 a[0:3], v[80:83], v[48:51], a[0:3], v204, v202 op_sel_hi:[0,0,0] cbsz:4 blgp:4// 000000005AD8: D3AC6000 180395CC D3AD8C00 84026150
	buffer_load_dwordx4 v[128:131], v225, s[16:19], 0 offen offset:1024// 000000005AE8: E05C1400 800480E1
	v_mfma_scale_f32_16x16x128_f8f6f4 a[4:7], v[80:83], v[52:55], a[4:7], v204, v202 op_sel_hi:[0,0,0] cbsz:4 blgp:4// 000000005AF0: D3AC7000 180395CC D3AD8C04 84126950
	v_mfma_scale_f32_16x16x128_f8f6f4 a[8:11], v[84:87], v[48:51], a[8:11], v204, v202 op_sel_hi:[0,0,0] cbsz:4 blgp:4// 000000005B00: D3AC6800 180395CC D3AD8C08 84226154
	buffer_load_dwordx4 v[132:135], v226, s[16:19], 0 offen offset:1024// 000000005B10: E05C1400 800484E2
	v_mfma_scale_f32_16x16x128_f8f6f4 a[12:15], v[84:87], v[52:55], a[12:15], v204, v202 op_sel_hi:[0,0,0] cbsz:4 blgp:4// 000000005B18: D3AC7800 180395CC D3AD8C0C 84326954
	buffer_load_dword v207, v238, s[24:27], 0 offen            // 000000005B28: E0501000 8006CFEE
	s_waitcnt vmcnt(10)                                        // 000000005B30: BF8C0F7A
	v_mfma_scale_f32_16x16x128_f8f6f4 a[16:19], v[88:91], v[40:43], a[16:19], v205, v202 op_sel_hi:[0,0,0] cbsz:4 blgp:4// 000000005B34: D3AC6000 000395CD D3AD8C10 84425158
	buffer_load_dwordx4 v[136:139], v227, s[16:19], 0 offen    // 000000005B44: E05C1000 800488E3
	v_mfma_scale_f32_16x16x128_f8f6f4 a[20:23], v[88:91], v[44:47], a[20:23], v205, v202 op_sel_hi:[0,0,0] cbsz:4 blgp:4// 000000005B4C: D3AC7000 000395CD D3AD8C14 84525958
	v_mfma_scale_f32_16x16x128_f8f6f4 a[24:27], v[92:95], v[40:43], a[24:27], v205, v202 op_sel_hi:[0,0,0] cbsz:4 blgp:4// 000000005B5C: D3AC6800 000395CD D3AD8C18 8462515C
	buffer_load_dwordx4 v[140:143], v228, s[16:19], 0 offen    // 000000005B6C: E05C1000 80048CE4
	v_mfma_scale_f32_16x16x128_f8f6f4 a[28:31], v[92:95], v[44:47], a[28:31], v205, v202 op_sel_hi:[0,0,0] cbsz:4 blgp:4// 000000005B74: D3AC7800 000395CD D3AD8C1C 8472595C
	v_mfma_scale_f32_16x16x128_f8f6f4 a[16:19], v[96:99], v[48:51], a[16:19], v205, v202 op_sel_hi:[0,0,0] cbsz:4 blgp:4// 000000005B84: D3AC6000 180395CD D3AD8C10 84426160
	buffer_load_dwordx4 v[144:147], v227, s[16:19], 0 offen offset:1024// 000000005B94: E05C1400 800490E3
	v_mfma_scale_f32_16x16x128_f8f6f4 a[20:23], v[96:99], v[52:55], a[20:23], v205, v202 op_sel_hi:[0,0,0] cbsz:4 blgp:4// 000000005B9C: D3AC7000 180395CD D3AD8C14 84526960
	v_mfma_scale_f32_16x16x128_f8f6f4 a[24:27], v[100:103], v[48:51], a[24:27], v205, v202 op_sel_hi:[0,0,0] cbsz:4 blgp:4// 000000005BAC: D3AC6800 180395CD D3AD8C18 84626164
	buffer_load_dwordx4 v[148:151], v228, s[16:19], 0 offen offset:1024// 000000005BBC: E05C1400 800494E4
	v_mfma_scale_f32_16x16x128_f8f6f4 a[28:31], v[100:103], v[52:55], a[28:31], v205, v202 op_sel_hi:[0,0,0] cbsz:4 blgp:4// 000000005BC4: D3AC7800 180395CD D3AD8C1C 84726964
	buffer_load_dword v208, v239, s[24:27], 0 offen            // 000000005BD4: E0501000 8006D0EF
	s_waitcnt vmcnt(10)                                        // 000000005BDC: BF8C0F7A
	v_mfma_scale_f32_16x16x128_f8f6f4 a[32:35], v[104:107], v[40:43], a[32:35], v206, v202 op_sel_hi:[0,0,0] cbsz:4 blgp:4// 000000005BE0: D3AC6000 000395CE D3AD8C20 84825168
	buffer_load_dwordx4 v[152:155], v229, s[16:19], 0 offen    // 000000005BF0: E05C1000 800498E5
	v_mfma_scale_f32_16x16x128_f8f6f4 a[36:39], v[104:107], v[44:47], a[36:39], v206, v202 op_sel_hi:[0,0,0] cbsz:4 blgp:4// 000000005BF8: D3AC7000 000395CE D3AD8C24 84925968
	v_mfma_scale_f32_16x16x128_f8f6f4 a[40:43], v[108:111], v[40:43], a[40:43], v206, v202 op_sel_hi:[0,0,0] cbsz:4 blgp:4// 000000005C08: D3AC6800 000395CE D3AD8C28 84A2516C
	buffer_load_dwordx4 v[156:159], v230, s[16:19], 0 offen    // 000000005C18: E05C1000 80049CE6
	v_mfma_scale_f32_16x16x128_f8f6f4 a[44:47], v[108:111], v[44:47], a[44:47], v206, v202 op_sel_hi:[0,0,0] cbsz:4 blgp:4// 000000005C20: D3AC7800 000395CE D3AD8C2C 84B2596C
	v_mfma_scale_f32_16x16x128_f8f6f4 a[32:35], v[112:115], v[48:51], a[32:35], v206, v202 op_sel_hi:[0,0,0] cbsz:4 blgp:4// 000000005C30: D3AC6000 180395CE D3AD8C20 84826170
	buffer_load_dwordx4 v[160:163], v229, s[16:19], 0 offen offset:1024// 000000005C40: E05C1400 8004A0E5
	v_mfma_scale_f32_16x16x128_f8f6f4 a[36:39], v[112:115], v[52:55], a[36:39], v206, v202 op_sel_hi:[0,0,0] cbsz:4 blgp:4// 000000005C48: D3AC7000 180395CE D3AD8C24 84926970
	v_mfma_scale_f32_16x16x128_f8f6f4 a[40:43], v[116:119], v[48:51], a[40:43], v206, v202 op_sel_hi:[0,0,0] cbsz:4 blgp:4// 000000005C58: D3AC6800 180395CE D3AD8C28 84A26174
	buffer_load_dwordx4 v[164:167], v230, s[16:19], 0 offen offset:1024// 000000005C68: E05C1400 8004A4E6
	v_mfma_scale_f32_16x16x128_f8f6f4 a[44:47], v[116:119], v[52:55], a[44:47], v206, v202 op_sel_hi:[0,0,0] cbsz:4 blgp:4// 000000005C70: D3AC7800 180395CE D3AD8C2C 84B26974
	buffer_load_dword v209, v240, s[24:27], 0 offen            // 000000005C80: E0501000 8006D1F0
	s_waitcnt vmcnt(10)                                        // 000000005C88: BF8C0F7A
	v_mfma_scale_f32_16x16x128_f8f6f4 a[48:51], v[120:123], v[40:43], a[48:51], v207, v202 op_sel_hi:[0,0,0] cbsz:4 blgp:4// 000000005C8C: D3AC6000 000395CF D3AD8C30 84C25178
	buffer_load_dwordx4 v[168:171], v231, s[16:19], 0 offen    // 000000005C9C: E05C1000 8004A8E7
	v_mfma_scale_f32_16x16x128_f8f6f4 a[52:55], v[120:123], v[44:47], a[52:55], v207, v202 op_sel_hi:[0,0,0] cbsz:4 blgp:4// 000000005CA4: D3AC7000 000395CF D3AD8C34 84D25978
	v_mfma_scale_f32_16x16x128_f8f6f4 a[56:59], v[124:127], v[40:43], a[56:59], v207, v202 op_sel_hi:[0,0,0] cbsz:4 blgp:4// 000000005CB4: D3AC6800 000395CF D3AD8C38 84E2517C
	buffer_load_dwordx4 v[172:175], v232, s[16:19], 0 offen    // 000000005CC4: E05C1000 8004ACE8
	v_mfma_scale_f32_16x16x128_f8f6f4 a[60:63], v[124:127], v[44:47], a[60:63], v207, v202 op_sel_hi:[0,0,0] cbsz:4 blgp:4// 000000005CCC: D3AC7800 000395CF D3AD8C3C 84F2597C
	v_mfma_scale_f32_16x16x128_f8f6f4 a[48:51], v[128:131], v[48:51], a[48:51], v207, v202 op_sel_hi:[0,0,0] cbsz:4 blgp:4// 000000005CDC: D3AC6000 180395CF D3AD8C30 84C26180
	buffer_load_dwordx4 v[176:179], v231, s[16:19], 0 offen offset:1024// 000000005CEC: E05C1400 8004B0E7
	v_mfma_scale_f32_16x16x128_f8f6f4 a[52:55], v[128:131], v[52:55], a[52:55], v207, v202 op_sel_hi:[0,0,0] cbsz:4 blgp:4// 000000005CF4: D3AC7000 180395CF D3AD8C34 84D26980
	v_mfma_scale_f32_16x16x128_f8f6f4 a[56:59], v[132:135], v[48:51], a[56:59], v207, v202 op_sel_hi:[0,0,0] cbsz:4 blgp:4// 000000005D04: D3AC6800 180395CF D3AD8C38 84E26184
	buffer_load_dwordx4 v[180:183], v232, s[16:19], 0 offen offset:1024// 000000005D14: E05C1400 8004B4E8
	v_mfma_scale_f32_16x16x128_f8f6f4 a[60:63], v[132:135], v[52:55], a[60:63], v207, v202 op_sel_hi:[0,0,0] cbsz:4 blgp:4// 000000005D1C: D3AC7800 180395CF D3AD8C3C 84F26984
	buffer_load_dword v210, v241, s[24:27], 0 offen            // 000000005D2C: E0501000 8006D2F1
	s_waitcnt vmcnt(10)                                        // 000000005D34: BF8C0F7A
	v_mfma_scale_f32_16x16x128_f8f6f4 a[64:67], v[136:139], v[40:43], a[64:67], v208, v202 op_sel_hi:[0,0,0] cbsz:4 blgp:4// 000000005D38: D3AC6000 000395D0 D3AD8C40 85025188
	s_add_u32 s63, 0x100, s60                                  // 000000005D48: 803F3CFF 00000100
	buffer_load_dwordx4 v[184:187], v233, s[16:19], 0 offen    // 000000005D50: E05C1000 8004B8E9
	v_mfma_scale_f32_16x16x128_f8f6f4 a[68:71], v[136:139], v[44:47], a[68:71], v208, v202 op_sel_hi:[0,0,0] cbsz:4 blgp:4// 000000005D58: D3AC7000 000395D0 D3AD8C44 85125988
	s_cmp_lt_u32 s63, s61                                      // 000000005D68: BF0A3D3F
	s_cselect_b32 s67, s67, 0                                  // 000000005D6C: 85438043
	v_mfma_scale_f32_16x16x128_f8f6f4 a[72:75], v[140:143], v[40:43], a[72:75], v208, v202 op_sel_hi:[0,0,0] cbsz:4 blgp:4// 000000005D70: D3AC6800 000395D0 D3AD8C48 8522518C
	s_cselect_b32 s69, s69, 0                                  // 000000005D80: 85458045
	buffer_load_dwordx4 v[188:191], v234, s[16:19], 0 offen    // 000000005D84: E05C1000 8004BCEA
	v_mfma_scale_f32_16x16x128_f8f6f4 a[76:79], v[140:143], v[44:47], a[76:79], v208, v202 op_sel_hi:[0,0,0] cbsz:4 blgp:4// 000000005D8C: D3AC7800 000395D0 D3AD8C4C 8532598C
	v_mfma_scale_f32_16x16x128_f8f6f4 a[64:67], v[144:147], v[48:51], a[64:67], v208, v202 op_sel_hi:[0,0,0] cbsz:4 blgp:4// 000000005D9C: D3AC6000 180395D0 D3AD8C40 85026190
	buffer_load_dwordx4 v[192:195], v233, s[16:19], 0 offen offset:1024// 000000005DAC: E05C1400 8004C0E9
	v_mfma_scale_f32_16x16x128_f8f6f4 a[68:71], v[144:147], v[52:55], a[68:71], v208, v202 op_sel_hi:[0,0,0] cbsz:4 blgp:4// 000000005DB4: D3AC7000 180395D0 D3AD8C44 85126990
	v_mfma_scale_f32_16x16x128_f8f6f4 a[72:75], v[148:151], v[48:51], a[72:75], v208, v202 op_sel_hi:[0,0,0] cbsz:4 blgp:4// 000000005DC4: D3AC6800 180395D0 D3AD8C48 85226194
	buffer_load_dwordx4 v[196:199], v234, s[16:19], 0 offen offset:1024// 000000005DD4: E05C1400 8004C4EA
	v_mfma_scale_f32_16x16x128_f8f6f4 a[76:79], v[148:151], v[52:55], a[76:79], v208, v202 op_sel_hi:[0,0,0] cbsz:4 blgp:4// 000000005DDC: D3AC7800 180395D0 D3AD8C4C 85326994
	buffer_load_dword v211, v242, s[24:27], 0 offen            // 000000005DEC: E0501000 8006D3F2
	s_add_u32 s16, s16, s67                                    // 000000005DF4: 80104310
	s_addc_u32 s17, 0, s17                                     // 000000005DF8: 82111180
	s_sub_u32 s18, s18, s67                                    // 000000005DFC: 80924312
	s_add_u32 s24, s24, s69                                    // 000000005E00: 80184518
	s_addc_u32 s25, 0, s25                                     // 000000005E04: 82191980
	s_sub_u32 s26, s26, s69                                    // 000000005E08: 809A451A
	s_add_u32 m0, 0, s65                                       // 000000005E0C: 807C4180
	buffer_load_dword v217, s[20:23], 0 offen lds              // 000000005E10: E0511000 800500D9
	s_waitcnt vmcnt(11)                                        // 000000005E18: BF8C0F7B
	v_mfma_scale_f32_16x16x128_f8f6f4 a[80:83], v[152:155], v[40:43], a[80:83], v209, v202 op_sel_hi:[0,0,0] cbsz:4 blgp:4// 000000005E1C: D3AC6000 000395D1 D3AD8C50 85425198
	s_add_u32 m0, 0, s64                                       // 000000005E2C: 807C4080
	buffer_load_dwordx4 v212, s[12:15], 0 offen lds            // 000000005E30: E05D1000 800300D4
	v_mfma_scale_f32_16x16x128_f8f6f4 a[84:87], v[152:155], v[44:47], a[84:87], v209, v202 op_sel_hi:[0,0,0] cbsz:4 blgp:4// 000000005E38: D3AC7000 000395D1 D3AD8C54 85525998
	s_add_u32 s62, 0x300, s60                                  // 000000005E48: 803E3CFF 00000300
	s_cmp_lt_u32 s62, s61                                      // 000000005E50: BF0A3D3E
	v_mfma_scale_f32_16x16x128_f8f6f4 a[88:91], v[156:159], v[40:43], a[88:91], v209, v202 op_sel_hi:[0,0,0] cbsz:4 blgp:4// 000000005E54: D3AC6800 000395D1 D3AD8C58 8562519C
	s_cselect_b32 s66, s66, 0                                  // 000000005E64: 85428042
	buffer_load_dwordx4 v[72:75], v219, s[16:19], 0 offen      // 000000005E68: E05C1000 800448DB
	v_mfma_scale_f32_16x16x128_f8f6f4 a[92:95], v[156:159], v[44:47], a[92:95], v209, v202 op_sel_hi:[0,0,0] cbsz:4 blgp:4// 000000005E70: D3AC7800 000395D1 D3AD8C5C 8572599C
	s_cselect_b32 s68, s68, 0                                  // 000000005E80: 85448044
	s_add_u32 s12, s12, s66                                    // 000000005E84: 800C420C
	v_mfma_scale_f32_16x16x128_f8f6f4 a[80:83], v[160:163], v[48:51], a[80:83], v209, v202 op_sel_hi:[0,0,0] cbsz:4 blgp:4// 000000005E88: D3AC6000 180395D1 D3AD8C50 854261A0
	s_addc_u32 s13, 0, s13                                     // 000000005E98: 820D0D80
	buffer_load_dwordx4 v[76:79], v220, s[16:19], 0 offen      // 000000005E9C: E05C1000 80044CDC
	v_mfma_scale_f32_16x16x128_f8f6f4 a[84:87], v[160:163], v[52:55], a[84:87], v209, v202 op_sel_hi:[0,0,0] cbsz:4 blgp:4// 000000005EA4: D3AC7000 180395D1 D3AD8C54 855269A0
	s_sub_u32 s14, s14, s66                                    // 000000005EB4: 808E420E
	s_add_u32 s20, s20, s68                                    // 000000005EB8: 80144414
	v_mfma_scale_f32_16x16x128_f8f6f4 a[88:91], v[164:167], v[48:51], a[88:91], v209, v202 op_sel_hi:[0,0,0] cbsz:4 blgp:4// 000000005EBC: D3AC6800 180395D1 D3AD8C58 856261A4
	s_addc_u32 s21, 0, s21                                     // 000000005ECC: 82151580
	buffer_load_dwordx4 v[80:83], v219, s[16:19], 0 offen offset:1024// 000000005ED0: E05C1400 800450DB
	v_mfma_scale_f32_16x16x128_f8f6f4 a[92:95], v[164:167], v[52:55], a[92:95], v209, v202 op_sel_hi:[0,0,0] cbsz:4 blgp:4// 000000005ED8: D3AC7800 180395D1 D3AD8C5C 857269A4
	s_sub_u32 s22, s22, s68                                    // 000000005EE8: 80964416
	buffer_load_dwordx4 v[84:87], v220, s[16:19], 0 offen offset:1024// 000000005EEC: E05C1400 800454DC
	buffer_load_dword v204, v235, s[24:27], 0 offen            // 000000005EF4: E0501000 8006CCEB
	s_waitcnt vmcnt(12)                                        // 000000005EFC: BF8C0F7C
	v_mfma_scale_f32_16x16x128_f8f6f4 a[96:99], v[168:171], v[40:43], a[96:99], v210, v202 op_sel_hi:[0,0,0] cbsz:4 blgp:4// 000000005F00: D3AC6000 000395D2 D3AD8C60 858251A8
	buffer_load_dwordx4 v[88:91], v221, s[16:19], 0 offen      // 000000005F10: E05C1000 800458DD
	v_mfma_scale_f32_16x16x128_f8f6f4 a[100:103], v[168:171], v[44:47], a[100:103], v210, v202 op_sel_hi:[0,0,0] cbsz:4 blgp:4// 000000005F18: D3AC7000 000395D2 D3AD8C64 859259A8
	v_mfma_scale_f32_16x16x128_f8f6f4 a[104:107], v[172:175], v[40:43], a[104:107], v210, v202 op_sel_hi:[0,0,0] cbsz:4 blgp:4// 000000005F28: D3AC6800 000395D2 D3AD8C68 85A251AC
	buffer_load_dwordx4 v[92:95], v222, s[16:19], 0 offen      // 000000005F38: E05C1000 80045CDE
	v_mfma_scale_f32_16x16x128_f8f6f4 a[108:111], v[172:175], v[44:47], a[108:111], v210, v202 op_sel_hi:[0,0,0] cbsz:4 blgp:4// 000000005F40: D3AC7800 000395D2 D3AD8C6C 85B259AC
	v_mfma_scale_f32_16x16x128_f8f6f4 a[96:99], v[176:179], v[48:51], a[96:99], v210, v202 op_sel_hi:[0,0,0] cbsz:4 blgp:4// 000000005F50: D3AC6000 180395D2 D3AD8C60 858261B0
	buffer_load_dwordx4 v[96:99], v221, s[16:19], 0 offen offset:1024// 000000005F60: E05C1400 800460DD
	v_mfma_scale_f32_16x16x128_f8f6f4 a[100:103], v[176:179], v[52:55], a[100:103], v210, v202 op_sel_hi:[0,0,0] cbsz:4 blgp:4// 000000005F68: D3AC7000 180395D2 D3AD8C64 859269B0
	v_mfma_scale_f32_16x16x128_f8f6f4 a[104:107], v[180:183], v[48:51], a[104:107], v210, v202 op_sel_hi:[0,0,0] cbsz:4 blgp:4// 000000005F78: D3AC6800 180395D2 D3AD8C68 85A261B4
	buffer_load_dwordx4 v[100:103], v222, s[16:19], 0 offen offset:1024// 000000005F88: E05C1400 800464DE
	v_mfma_scale_f32_16x16x128_f8f6f4 a[108:111], v[180:183], v[52:55], a[108:111], v210, v202 op_sel_hi:[0,0,0] cbsz:4 blgp:4// 000000005F90: D3AC7800 180395D2 D3AD8C6C 85B269B4
	buffer_load_dword v205, v236, s[24:27], 0 offen            // 000000005FA0: E0501000 8006CDEC
	s_waitcnt vmcnt(10)                                        // 000000005FA8: BF8C0F7A
	s_barrier                                                  // 000000005FAC: BF8A0000
	v_mfma_scale_f32_16x16x128_f8f6f4 a[112:115], v[184:187], v[40:43], a[112:115], v211, v202 op_sel_hi:[0,0,0] cbsz:4 blgp:4// 000000005FB0: D3AC6000 000395D3 D3AD8C70 85C251B8
	s_addk_i32 s60, 0x100                                      // 000000005FC0: B73C0100
	buffer_load_dwordx4 v[104:107], v223, s[16:19], 0 offen    // 000000005FC4: E05C1000 800468DF
	v_mfma_scale_f32_16x16x128_f8f6f4 a[116:119], v[184:187], v[44:47], a[116:119], v211, v202 op_sel_hi:[0,0,0] cbsz:4 blgp:4// 000000005FCC: D3AC7000 000395D3 D3AD8C74 85D259B8
	s_cmp_lt_i32 s60, s61                                      // 000000005FDC: BF043D3C
	ds_read_b128 v[8:11], v213                                 // 000000005FE0: D9FE0000 080000D5
	v_mfma_scale_f32_16x16x128_f8f6f4 a[120:123], v[188:191], v[40:43], a[120:123], v211, v202 op_sel_hi:[0,0,0] cbsz:4 blgp:4// 000000005FE8: D3AC6800 000395D3 D3AD8C78 85E251BC
	buffer_load_dwordx4 v[108:111], v224, s[16:19], 0 offen    // 000000005FF8: E05C1000 80046CE0
	v_mfma_scale_f32_16x16x128_f8f6f4 a[124:127], v[188:191], v[44:47], a[124:127], v211, v202 op_sel_hi:[0,0,0] cbsz:4 blgp:4// 000000006000: D3AC7800 000395D3 D3AD8C7C 85F259BC
	ds_read_b128 v[16:19], v213 offset:64                      // 000000006010: D9FE0040 100000D5
	v_mfma_scale_f32_16x16x128_f8f6f4 a[112:115], v[192:195], v[48:51], a[112:115], v211, v202 op_sel_hi:[0,0,0] cbsz:4 blgp:4// 000000006018: D3AC6000 180395D3 D3AD8C70 85C261C0
	buffer_load_dwordx4 v[112:115], v223, s[16:19], 0 offen offset:1024// 000000006028: E05C1400 800470DF
	v_mfma_scale_f32_16x16x128_f8f6f4 a[116:119], v[192:195], v[52:55], a[116:119], v211, v202 op_sel_hi:[0,0,0] cbsz:4 blgp:4// 000000006030: D3AC7000 180395D3 D3AD8C74 85D269C0
	ds_read_b128 v[12:15], v213 offset:512                     // 000000006040: D9FE0200 0C0000D5
	v_mfma_scale_f32_16x16x128_f8f6f4 a[120:123], v[196:199], v[48:51], a[120:123], v211, v202 op_sel_hi:[0,0,0] cbsz:4 blgp:4// 000000006048: D3AC6800 180395D3 D3AD8C78 85E261C4
	buffer_load_dwordx4 v[116:119], v224, s[16:19], 0 offen offset:1024// 000000006058: E05C1400 800474E0
	v_mfma_scale_f32_16x16x128_f8f6f4 a[124:127], v[196:199], v[52:55], a[124:127], v211, v202 op_sel_hi:[0,0,0] cbsz:4 blgp:4// 000000006060: D3AC7800 180395D3 D3AD8C7C 85F269C4
	ds_read_b128 v[20:23], v213 offset:576                     // 000000006070: D9FE0240 140000D5
	ds_read_b32 v200, v218                                     // 000000006078: D86C0000 C80000DA
	buffer_load_dword v206, v237, s[24:27], 0 offen            // 000000006080: E0501000 8006CEED
	s_cbranch_scc0 label_0EA8                                  // 000000006088: BF840185
	s_waitcnt vmcnt(10) lgkmcnt(5)                             // 00000000608C: BF8C057A
	v_mfma_scale_f32_16x16x128_f8f6f4 a[0:3], v[72:75], v[56:59], a[0:3], v204, v203 op_sel_hi:[0,0,0] cbsz:4 blgp:4// 000000006090: D3AC6000 000397CC D3AD8C00 84027148
	buffer_load_dwordx4 v[120:123], v225, s[16:19], 0 offen    // 0000000060A0: E05C1000 800478E1
	v_mfma_scale_f32_16x16x128_f8f6f4 a[4:7], v[72:75], v[60:63], a[4:7], v204, v203 op_sel_hi:[0,0,0] cbsz:4 blgp:4// 0000000060A8: D3AC7000 000397CC D3AD8C04 84127948
	v_mfma_scale_f32_16x16x128_f8f6f4 a[8:11], v[76:79], v[56:59], a[8:11], v204, v203 op_sel_hi:[0,0,0] cbsz:4 blgp:4// 0000000060B8: D3AC6800 000397CC D3AD8C08 8422714C
	buffer_load_dwordx4 v[124:127], v226, s[16:19], 0 offen    // 0000000060C8: E05C1000 80047CE2
	v_mfma_scale_f32_16x16x128_f8f6f4 a[12:15], v[76:79], v[60:63], a[12:15], v204, v203 op_sel_hi:[0,0,0] cbsz:4 blgp:4// 0000000060D0: D3AC7800 000397CC D3AD8C0C 8432794C
	v_mfma_scale_f32_16x16x128_f8f6f4 a[0:3], v[80:83], v[64:67], a[0:3], v204, v203 op_sel_hi:[0,0,0] cbsz:4 blgp:4// 0000000060E0: D3AC6000 180397CC D3AD8C00 84028150
	buffer_load_dwordx4 v[128:131], v225, s[16:19], 0 offen offset:1024// 0000000060F0: E05C1400 800480E1
	v_mfma_scale_f32_16x16x128_f8f6f4 a[4:7], v[80:83], v[68:71], a[4:7], v204, v203 op_sel_hi:[0,0,0] cbsz:4 blgp:4// 0000000060F8: D3AC7000 180397CC D3AD8C04 84128950
	v_mfma_scale_f32_16x16x128_f8f6f4 a[8:11], v[84:87], v[64:67], a[8:11], v204, v203 op_sel_hi:[0,0,0] cbsz:4 blgp:4// 000000006108: D3AC6800 180397CC D3AD8C08 84228154
	buffer_load_dwordx4 v[132:135], v226, s[16:19], 0 offen offset:1024// 000000006118: E05C1400 800484E2
	v_mfma_scale_f32_16x16x128_f8f6f4 a[12:15], v[84:87], v[68:71], a[12:15], v204, v203 op_sel_hi:[0,0,0] cbsz:4 blgp:4// 000000006120: D3AC7800 180397CC D3AD8C0C 84328954
	buffer_load_dword v207, v238, s[24:27], 0 offen            // 000000006130: E0501000 8006CFEE
	s_waitcnt vmcnt(10)                                        // 000000006138: BF8C0F7A
	v_mfma_scale_f32_16x16x128_f8f6f4 a[16:19], v[88:91], v[56:59], a[16:19], v205, v203 op_sel_hi:[0,0,0] cbsz:4 blgp:4// 00000000613C: D3AC6000 000397CD D3AD8C10 84427158
	buffer_load_dwordx4 v[136:139], v227, s[16:19], 0 offen    // 00000000614C: E05C1000 800488E3
	v_mfma_scale_f32_16x16x128_f8f6f4 a[20:23], v[88:91], v[60:63], a[20:23], v205, v203 op_sel_hi:[0,0,0] cbsz:4 blgp:4// 000000006154: D3AC7000 000397CD D3AD8C14 84527958
	v_mfma_scale_f32_16x16x128_f8f6f4 a[24:27], v[92:95], v[56:59], a[24:27], v205, v203 op_sel_hi:[0,0,0] cbsz:4 blgp:4// 000000006164: D3AC6800 000397CD D3AD8C18 8462715C
	buffer_load_dwordx4 v[140:143], v228, s[16:19], 0 offen    // 000000006174: E05C1000 80048CE4
	v_mfma_scale_f32_16x16x128_f8f6f4 a[28:31], v[92:95], v[60:63], a[28:31], v205, v203 op_sel_hi:[0,0,0] cbsz:4 blgp:4// 00000000617C: D3AC7800 000397CD D3AD8C1C 8472795C
	v_mfma_scale_f32_16x16x128_f8f6f4 a[16:19], v[96:99], v[64:67], a[16:19], v205, v203 op_sel_hi:[0,0,0] cbsz:4 blgp:4// 00000000618C: D3AC6000 180397CD D3AD8C10 84428160
	buffer_load_dwordx4 v[144:147], v227, s[16:19], 0 offen offset:1024// 00000000619C: E05C1400 800490E3
	v_mfma_scale_f32_16x16x128_f8f6f4 a[20:23], v[96:99], v[68:71], a[20:23], v205, v203 op_sel_hi:[0,0,0] cbsz:4 blgp:4// 0000000061A4: D3AC7000 180397CD D3AD8C14 84528960
	v_mfma_scale_f32_16x16x128_f8f6f4 a[24:27], v[100:103], v[64:67], a[24:27], v205, v203 op_sel_hi:[0,0,0] cbsz:4 blgp:4// 0000000061B4: D3AC6800 180397CD D3AD8C18 84628164
	buffer_load_dwordx4 v[148:151], v228, s[16:19], 0 offen offset:1024// 0000000061C4: E05C1400 800494E4
	v_mfma_scale_f32_16x16x128_f8f6f4 a[28:31], v[100:103], v[68:71], a[28:31], v205, v203 op_sel_hi:[0,0,0] cbsz:4 blgp:4// 0000000061CC: D3AC7800 180397CD D3AD8C1C 84728964
	buffer_load_dword v208, v239, s[24:27], 0 offen            // 0000000061DC: E0501000 8006D0EF
	s_waitcnt vmcnt(10)                                        // 0000000061E4: BF8C0F7A
	v_mfma_scale_f32_16x16x128_f8f6f4 a[32:35], v[104:107], v[56:59], a[32:35], v206, v203 op_sel_hi:[0,0,0] cbsz:4 blgp:4// 0000000061E8: D3AC6000 000397CE D3AD8C20 84827168
	buffer_load_dwordx4 v[152:155], v229, s[16:19], 0 offen    // 0000000061F8: E05C1000 800498E5
	v_mfma_scale_f32_16x16x128_f8f6f4 a[36:39], v[104:107], v[60:63], a[36:39], v206, v203 op_sel_hi:[0,0,0] cbsz:4 blgp:4// 000000006200: D3AC7000 000397CE D3AD8C24 84927968
	v_mfma_scale_f32_16x16x128_f8f6f4 a[40:43], v[108:111], v[56:59], a[40:43], v206, v203 op_sel_hi:[0,0,0] cbsz:4 blgp:4// 000000006210: D3AC6800 000397CE D3AD8C28 84A2716C
	buffer_load_dwordx4 v[156:159], v230, s[16:19], 0 offen    // 000000006220: E05C1000 80049CE6
	v_mfma_scale_f32_16x16x128_f8f6f4 a[44:47], v[108:111], v[60:63], a[44:47], v206, v203 op_sel_hi:[0,0,0] cbsz:4 blgp:4// 000000006228: D3AC7800 000397CE D3AD8C2C 84B2796C
	v_mfma_scale_f32_16x16x128_f8f6f4 a[32:35], v[112:115], v[64:67], a[32:35], v206, v203 op_sel_hi:[0,0,0] cbsz:4 blgp:4// 000000006238: D3AC6000 180397CE D3AD8C20 84828170
	buffer_load_dwordx4 v[160:163], v229, s[16:19], 0 offen offset:1024// 000000006248: E05C1400 8004A0E5
	v_mfma_scale_f32_16x16x128_f8f6f4 a[36:39], v[112:115], v[68:71], a[36:39], v206, v203 op_sel_hi:[0,0,0] cbsz:4 blgp:4// 000000006250: D3AC7000 180397CE D3AD8C24 84928970
	v_mfma_scale_f32_16x16x128_f8f6f4 a[40:43], v[116:119], v[64:67], a[40:43], v206, v203 op_sel_hi:[0,0,0] cbsz:4 blgp:4// 000000006260: D3AC6800 180397CE D3AD8C28 84A28174
	buffer_load_dwordx4 v[164:167], v230, s[16:19], 0 offen offset:1024// 000000006270: E05C1400 8004A4E6
	v_mfma_scale_f32_16x16x128_f8f6f4 a[44:47], v[116:119], v[68:71], a[44:47], v206, v203 op_sel_hi:[0,0,0] cbsz:4 blgp:4// 000000006278: D3AC7800 180397CE D3AD8C2C 84B28974
	buffer_load_dword v209, v240, s[24:27], 0 offen            // 000000006288: E0501000 8006D1F0
	s_waitcnt vmcnt(10)                                        // 000000006290: BF8C0F7A
	v_mfma_scale_f32_16x16x128_f8f6f4 a[48:51], v[120:123], v[56:59], a[48:51], v207, v203 op_sel_hi:[0,0,0] cbsz:4 blgp:4// 000000006294: D3AC6000 000397CF D3AD8C30 84C27178
	buffer_load_dwordx4 v[168:171], v231, s[16:19], 0 offen    // 0000000062A4: E05C1000 8004A8E7
	v_mfma_scale_f32_16x16x128_f8f6f4 a[52:55], v[120:123], v[60:63], a[52:55], v207, v203 op_sel_hi:[0,0,0] cbsz:4 blgp:4// 0000000062AC: D3AC7000 000397CF D3AD8C34 84D27978
	v_mfma_scale_f32_16x16x128_f8f6f4 a[56:59], v[124:127], v[56:59], a[56:59], v207, v203 op_sel_hi:[0,0,0] cbsz:4 blgp:4// 0000000062BC: D3AC6800 000397CF D3AD8C38 84E2717C
	buffer_load_dwordx4 v[172:175], v232, s[16:19], 0 offen    // 0000000062CC: E05C1000 8004ACE8
	v_mfma_scale_f32_16x16x128_f8f6f4 a[60:63], v[124:127], v[60:63], a[60:63], v207, v203 op_sel_hi:[0,0,0] cbsz:4 blgp:4// 0000000062D4: D3AC7800 000397CF D3AD8C3C 84F2797C
	v_mfma_scale_f32_16x16x128_f8f6f4 a[48:51], v[128:131], v[64:67], a[48:51], v207, v203 op_sel_hi:[0,0,0] cbsz:4 blgp:4// 0000000062E4: D3AC6000 180397CF D3AD8C30 84C28180
	buffer_load_dwordx4 v[176:179], v231, s[16:19], 0 offen offset:1024// 0000000062F4: E05C1400 8004B0E7
	v_mfma_scale_f32_16x16x128_f8f6f4 a[52:55], v[128:131], v[68:71], a[52:55], v207, v203 op_sel_hi:[0,0,0] cbsz:4 blgp:4// 0000000062FC: D3AC7000 180397CF D3AD8C34 84D28980
	v_mfma_scale_f32_16x16x128_f8f6f4 a[56:59], v[132:135], v[64:67], a[56:59], v207, v203 op_sel_hi:[0,0,0] cbsz:4 blgp:4// 00000000630C: D3AC6800 180397CF D3AD8C38 84E28184
	buffer_load_dwordx4 v[180:183], v232, s[16:19], 0 offen offset:1024// 00000000631C: E05C1400 8004B4E8
	v_mfma_scale_f32_16x16x128_f8f6f4 a[60:63], v[132:135], v[68:71], a[60:63], v207, v203 op_sel_hi:[0,0,0] cbsz:4 blgp:4// 000000006324: D3AC7800 180397CF D3AD8C3C 84F28984
	buffer_load_dword v210, v241, s[24:27], 0 offen            // 000000006334: E0501000 8006D2F1
	s_waitcnt vmcnt(10)                                        // 00000000633C: BF8C0F7A
	v_mfma_scale_f32_16x16x128_f8f6f4 a[64:67], v[136:139], v[56:59], a[64:67], v208, v203 op_sel_hi:[0,0,0] cbsz:4 blgp:4// 000000006340: D3AC6000 000397D0 D3AD8C40 85027188
	s_add_u32 s63, 0x100, s60                                  // 000000006350: 803F3CFF 00000100
	buffer_load_dwordx4 v[184:187], v233, s[16:19], 0 offen    // 000000006358: E05C1000 8004B8E9
	v_mfma_scale_f32_16x16x128_f8f6f4 a[68:71], v[136:139], v[60:63], a[68:71], v208, v203 op_sel_hi:[0,0,0] cbsz:4 blgp:4// 000000006360: D3AC7000 000397D0 D3AD8C44 85127988
	s_cmp_lt_u32 s63, s61                                      // 000000006370: BF0A3D3F
	s_cselect_b32 s67, s67, 0                                  // 000000006374: 85438043
	v_mfma_scale_f32_16x16x128_f8f6f4 a[72:75], v[140:143], v[56:59], a[72:75], v208, v203 op_sel_hi:[0,0,0] cbsz:4 blgp:4// 000000006378: D3AC6800 000397D0 D3AD8C48 8522718C
	s_cselect_b32 s69, s69, 0                                  // 000000006388: 85458045
	buffer_load_dwordx4 v[188:191], v234, s[16:19], 0 offen    // 00000000638C: E05C1000 8004BCEA
	v_mfma_scale_f32_16x16x128_f8f6f4 a[76:79], v[140:143], v[60:63], a[76:79], v208, v203 op_sel_hi:[0,0,0] cbsz:4 blgp:4// 000000006394: D3AC7800 000397D0 D3AD8C4C 8532798C
	v_mfma_scale_f32_16x16x128_f8f6f4 a[64:67], v[144:147], v[64:67], a[64:67], v208, v203 op_sel_hi:[0,0,0] cbsz:4 blgp:4// 0000000063A4: D3AC6000 180397D0 D3AD8C40 85028190
	buffer_load_dwordx4 v[192:195], v233, s[16:19], 0 offen offset:1024// 0000000063B4: E05C1400 8004C0E9
	v_mfma_scale_f32_16x16x128_f8f6f4 a[68:71], v[144:147], v[68:71], a[68:71], v208, v203 op_sel_hi:[0,0,0] cbsz:4 blgp:4// 0000000063BC: D3AC7000 180397D0 D3AD8C44 85128990
	v_mfma_scale_f32_16x16x128_f8f6f4 a[72:75], v[148:151], v[64:67], a[72:75], v208, v203 op_sel_hi:[0,0,0] cbsz:4 blgp:4// 0000000063CC: D3AC6800 180397D0 D3AD8C48 85228194
	buffer_load_dwordx4 v[196:199], v234, s[16:19], 0 offen offset:1024// 0000000063DC: E05C1400 8004C4EA
	v_mfma_scale_f32_16x16x128_f8f6f4 a[76:79], v[148:151], v[68:71], a[76:79], v208, v203 op_sel_hi:[0,0,0] cbsz:4 blgp:4// 0000000063E4: D3AC7800 180397D0 D3AD8C4C 85328994
	buffer_load_dword v211, v242, s[24:27], 0 offen            // 0000000063F4: E0501000 8006D3F2
	s_add_u32 s16, s16, s67                                    // 0000000063FC: 80104310
	s_addc_u32 s17, 0, s17                                     // 000000006400: 82111180
	s_sub_u32 s18, s18, s67                                    // 000000006404: 80924312
	s_add_u32 s24, s24, s69                                    // 000000006408: 80184518
	s_addc_u32 s25, 0, s25                                     // 00000000640C: 82191980
	s_sub_u32 s26, s26, s69                                    // 000000006410: 809A451A
	s_add_u32 m0, 0x400, s65                                   // 000000006414: 807C41FF 00000400
	buffer_load_dword v217, s[20:23], 0 offen lds              // 00000000641C: E0511000 800500D9
	s_waitcnt vmcnt(11)                                        // 000000006424: BF8C0F7B
	v_mfma_scale_f32_16x16x128_f8f6f4 a[80:83], v[152:155], v[56:59], a[80:83], v209, v203 op_sel_hi:[0,0,0] cbsz:4 blgp:4// 000000006428: D3AC6000 000397D1 D3AD8C50 85427198
	s_add_u32 m0, 0x1080, s64                                  // 000000006438: 807C40FF 00001080
	buffer_load_dwordx4 v212, s[12:15], 0 offen lds            // 000000006440: E05D1000 800300D4
	v_mfma_scale_f32_16x16x128_f8f6f4 a[84:87], v[152:155], v[60:63], a[84:87], v209, v203 op_sel_hi:[0,0,0] cbsz:4 blgp:4// 000000006448: D3AC7000 000397D1 D3AD8C54 85527998
	s_add_u32 s62, 0x300, s60                                  // 000000006458: 803E3CFF 00000300
	s_cmp_lt_u32 s62, s61                                      // 000000006460: BF0A3D3E
	v_mfma_scale_f32_16x16x128_f8f6f4 a[88:91], v[156:159], v[56:59], a[88:91], v209, v203 op_sel_hi:[0,0,0] cbsz:4 blgp:4// 000000006464: D3AC6800 000397D1 D3AD8C58 8562719C
	s_cselect_b32 s66, s66, 0                                  // 000000006474: 85428042
	buffer_load_dwordx4 v[72:75], v219, s[16:19], 0 offen      // 000000006478: E05C1000 800448DB
	v_mfma_scale_f32_16x16x128_f8f6f4 a[92:95], v[156:159], v[60:63], a[92:95], v209, v203 op_sel_hi:[0,0,0] cbsz:4 blgp:4// 000000006480: D3AC7800 000397D1 D3AD8C5C 8572799C
	s_cselect_b32 s68, s68, 0                                  // 000000006490: 85448044
	s_add_u32 s12, s12, s66                                    // 000000006494: 800C420C
	v_mfma_scale_f32_16x16x128_f8f6f4 a[80:83], v[160:163], v[64:67], a[80:83], v209, v203 op_sel_hi:[0,0,0] cbsz:4 blgp:4// 000000006498: D3AC6000 180397D1 D3AD8C50 854281A0
	s_addc_u32 s13, 0, s13                                     // 0000000064A8: 820D0D80
	buffer_load_dwordx4 v[76:79], v220, s[16:19], 0 offen      // 0000000064AC: E05C1000 80044CDC
	v_mfma_scale_f32_16x16x128_f8f6f4 a[84:87], v[160:163], v[68:71], a[84:87], v209, v203 op_sel_hi:[0,0,0] cbsz:4 blgp:4// 0000000064B4: D3AC7000 180397D1 D3AD8C54 855289A0
	s_sub_u32 s14, s14, s66                                    // 0000000064C4: 808E420E
	s_add_u32 s20, s20, s68                                    // 0000000064C8: 80144414
	v_mfma_scale_f32_16x16x128_f8f6f4 a[88:91], v[164:167], v[64:67], a[88:91], v209, v203 op_sel_hi:[0,0,0] cbsz:4 blgp:4// 0000000064CC: D3AC6800 180397D1 D3AD8C58 856281A4
	s_addc_u32 s21, 0, s21                                     // 0000000064DC: 82151580
	buffer_load_dwordx4 v[80:83], v219, s[16:19], 0 offen offset:1024// 0000000064E0: E05C1400 800450DB
	v_mfma_scale_f32_16x16x128_f8f6f4 a[92:95], v[164:167], v[68:71], a[92:95], v209, v203 op_sel_hi:[0,0,0] cbsz:4 blgp:4// 0000000064E8: D3AC7800 180397D1 D3AD8C5C 857289A4
	s_sub_u32 s22, s22, s68                                    // 0000000064F8: 80964416
	buffer_load_dwordx4 v[84:87], v220, s[16:19], 0 offen offset:1024// 0000000064FC: E05C1400 800454DC
	buffer_load_dword v204, v235, s[24:27], 0 offen            // 000000006504: E0501000 8006CCEB
	s_waitcnt vmcnt(12)                                        // 00000000650C: BF8C0F7C
	v_mfma_scale_f32_16x16x128_f8f6f4 a[96:99], v[168:171], v[56:59], a[96:99], v210, v203 op_sel_hi:[0,0,0] cbsz:4 blgp:4// 000000006510: D3AC6000 000397D2 D3AD8C60 858271A8
	buffer_load_dwordx4 v[88:91], v221, s[16:19], 0 offen      // 000000006520: E05C1000 800458DD
	v_mfma_scale_f32_16x16x128_f8f6f4 a[100:103], v[168:171], v[60:63], a[100:103], v210, v203 op_sel_hi:[0,0,0] cbsz:4 blgp:4// 000000006528: D3AC7000 000397D2 D3AD8C64 859279A8
	v_mfma_scale_f32_16x16x128_f8f6f4 a[104:107], v[172:175], v[56:59], a[104:107], v210, v203 op_sel_hi:[0,0,0] cbsz:4 blgp:4// 000000006538: D3AC6800 000397D2 D3AD8C68 85A271AC
	buffer_load_dwordx4 v[92:95], v222, s[16:19], 0 offen      // 000000006548: E05C1000 80045CDE
	v_mfma_scale_f32_16x16x128_f8f6f4 a[108:111], v[172:175], v[60:63], a[108:111], v210, v203 op_sel_hi:[0,0,0] cbsz:4 blgp:4// 000000006550: D3AC7800 000397D2 D3AD8C6C 85B279AC
	v_mfma_scale_f32_16x16x128_f8f6f4 a[96:99], v[176:179], v[64:67], a[96:99], v210, v203 op_sel_hi:[0,0,0] cbsz:4 blgp:4// 000000006560: D3AC6000 180397D2 D3AD8C60 858281B0
	buffer_load_dwordx4 v[96:99], v221, s[16:19], 0 offen offset:1024// 000000006570: E05C1400 800460DD
	v_mfma_scale_f32_16x16x128_f8f6f4 a[100:103], v[176:179], v[68:71], a[100:103], v210, v203 op_sel_hi:[0,0,0] cbsz:4 blgp:4// 000000006578: D3AC7000 180397D2 D3AD8C64 859289B0
	v_mfma_scale_f32_16x16x128_f8f6f4 a[104:107], v[180:183], v[64:67], a[104:107], v210, v203 op_sel_hi:[0,0,0] cbsz:4 blgp:4// 000000006588: D3AC6800 180397D2 D3AD8C68 85A281B4
	buffer_load_dwordx4 v[100:103], v222, s[16:19], 0 offen offset:1024// 000000006598: E05C1400 800464DE
	v_mfma_scale_f32_16x16x128_f8f6f4 a[108:111], v[180:183], v[68:71], a[108:111], v210, v203 op_sel_hi:[0,0,0] cbsz:4 blgp:4// 0000000065A0: D3AC7800 180397D2 D3AD8C6C 85B289B4
	buffer_load_dword v205, v236, s[24:27], 0 offen            // 0000000065B0: E0501000 8006CDEC
	s_waitcnt vmcnt(10)                                        // 0000000065B8: BF8C0F7A
	s_barrier                                                  // 0000000065BC: BF8A0000
	v_mfma_scale_f32_16x16x128_f8f6f4 a[112:115], v[184:187], v[56:59], a[112:115], v211, v203 op_sel_hi:[0,0,0] cbsz:4 blgp:4// 0000000065C0: D3AC6000 000397D3 D3AD8C70 85C271B8
	s_addk_i32 s60, 0x100                                      // 0000000065D0: B73C0100
	buffer_load_dwordx4 v[104:107], v223, s[16:19], 0 offen    // 0000000065D4: E05C1000 800468DF
	v_mfma_scale_f32_16x16x128_f8f6f4 a[116:119], v[184:187], v[60:63], a[116:119], v211, v203 op_sel_hi:[0,0,0] cbsz:4 blgp:4// 0000000065DC: D3AC7000 000397D3 D3AD8C74 85D279B8
	s_cmp_lt_i32 s60, s61                                      // 0000000065EC: BF043D3C
	ds_read_b128 v[24:27], v214                                // 0000000065F0: D9FE0000 180000D6
	v_mfma_scale_f32_16x16x128_f8f6f4 a[120:123], v[188:191], v[56:59], a[120:123], v211, v203 op_sel_hi:[0,0,0] cbsz:4 blgp:4// 0000000065F8: D3AC6800 000397D3 D3AD8C78 85E271BC
	buffer_load_dwordx4 v[108:111], v224, s[16:19], 0 offen    // 000000006608: E05C1000 80046CE0
	v_mfma_scale_f32_16x16x128_f8f6f4 a[124:127], v[188:191], v[60:63], a[124:127], v211, v203 op_sel_hi:[0,0,0] cbsz:4 blgp:4// 000000006610: D3AC7800 000397D3 D3AD8C7C 85F279BC
	ds_read_b128 v[32:35], v214 offset:64                      // 000000006620: D9FE0040 200000D6
	v_mfma_scale_f32_16x16x128_f8f6f4 a[112:115], v[192:195], v[64:67], a[112:115], v211, v203 op_sel_hi:[0,0,0] cbsz:4 blgp:4// 000000006628: D3AC6000 180397D3 D3AD8C70 85C281C0
	buffer_load_dwordx4 v[112:115], v223, s[16:19], 0 offen offset:1024// 000000006638: E05C1400 800470DF
	v_mfma_scale_f32_16x16x128_f8f6f4 a[116:119], v[192:195], v[68:71], a[116:119], v211, v203 op_sel_hi:[0,0,0] cbsz:4 blgp:4// 000000006640: D3AC7000 180397D3 D3AD8C74 85D289C0
	ds_read_b128 v[28:31], v214 offset:512                     // 000000006650: D9FE0200 1C0000D6
	v_mfma_scale_f32_16x16x128_f8f6f4 a[120:123], v[196:199], v[64:67], a[120:123], v211, v203 op_sel_hi:[0,0,0] cbsz:4 blgp:4// 000000006658: D3AC6800 180397D3 D3AD8C78 85E281C4
	buffer_load_dwordx4 v[116:119], v224, s[16:19], 0 offen offset:1024// 000000006668: E05C1400 800474E0
	v_mfma_scale_f32_16x16x128_f8f6f4 a[124:127], v[196:199], v[68:71], a[124:127], v211, v203 op_sel_hi:[0,0,0] cbsz:4 blgp:4// 000000006670: D3AC7800 180397D3 D3AD8C7C 85F289C4
	ds_read_b128 v[36:39], v214 offset:576                     // 000000006680: D9FE0240 240000D6
	ds_read_b32 v201, v218 offset:1024                         // 000000006688: D86C0400 C90000DA
	buffer_load_dword v206, v237, s[24:27], 0 offen            // 000000006690: E0501000 8006CEED
	s_cbranch_scc0 label_0EA8                                  // 000000006698: BF840001
	s_branch label_0899                                        // 00000000669C: BF82F9F1

00000000000066a0 <label_0EA8>:
	s_waitcnt lgkmcnt(0)                                       // 0000000066A0: BF8CC07F
	s_mul_i32 s62, s47, 0x400                                  // 0000000066A4: 923EFF2F 00000400
	s_mul_i32 s63, s46, 0x100                                  // 0000000066AC: 923FFF2E 00000100
	s_add_u32 s60, s62, s63                                    // 0000000066B4: 803C3F3E
	s_add_u32 s62, s60, 0x100                                  // 0000000066B8: 803EFF3C 00000100
	s_cmp_lt_i32 s44, s62                                      // 0000000066C0: BF043E2C
	s_cbranch_scc1 label_10C2                                  // 0000000066C4: BF850210
	s_mul_i32 s62, s36, 16                                     // 0000000066C8: 923E9024
	v_add_u32_e32 v247, 0, v243                                // 0000000066CC: 69EFE680
	v_accvgpr_read_b32 v8, a0                                  // 0000000066D0: D3D84008 18000100
	v_accvgpr_read_b32 v9, a1                                  // 0000000066D8: D3D84009 18000101
	v_accvgpr_read_b32 v10, a2                                 // 0000000066E0: D3D8400A 18000102
	v_accvgpr_read_b32 v11, a3                                 // 0000000066E8: D3D8400B 18000103
	v_accvgpr_read_b32 v12, a8                                 // 0000000066F0: D3D8400C 18000108
	v_accvgpr_read_b32 v13, a9                                 // 0000000066F8: D3D8400D 18000109
	v_accvgpr_read_b32 v14, a10                                // 000000006700: D3D8400E 1800010A
	v_accvgpr_read_b32 v15, a11                                // 000000006708: D3D8400F 1800010B
	v_cvt_pk_bf16_f32 v16, v8, v9                              // 000000006710: D2680010 00021308
	v_cvt_pk_bf16_f32 v17, v10, v11                            // 000000006718: D2680011 0002170A
	v_cvt_pk_bf16_f32 v18, v12, v13                            // 000000006720: D2680012 00021B0C
	v_cvt_pk_bf16_f32 v19, v14, v15                            // 000000006728: D2680013 00021F0E
	s_nop 1                                                    // 000000006730: BF800001
	v_permlane16_swap_b32_e32 v16, v18                         // 000000006734: 7E20B312
	s_nop 1                                                    // 000000006738: BF800001
	v_permlane16_swap_b32_e32 v17, v19                         // 00000000673C: 7E22B313
	s_nop 1                                                    // 000000006740: BF800001
	buffer_store_dwordx4 v[16:19], v247, s[4:7], 0 offen       // 000000006744: E07C1000 800110F7
	v_add_u32_e32 v247, s62, v247                              // 00000000674C: 69EFEE3E
	v_accvgpr_read_b32 v8, a4                                  // 000000006750: D3D84008 18000104
	v_accvgpr_read_b32 v9, a5                                  // 000000006758: D3D84009 18000105
	v_accvgpr_read_b32 v10, a6                                 // 000000006760: D3D8400A 18000106
	v_accvgpr_read_b32 v11, a7                                 // 000000006768: D3D8400B 18000107
	v_accvgpr_read_b32 v12, a12                                // 000000006770: D3D8400C 1800010C
	v_accvgpr_read_b32 v13, a13                                // 000000006778: D3D8400D 1800010D
	v_accvgpr_read_b32 v14, a14                                // 000000006780: D3D8400E 1800010E
	v_accvgpr_read_b32 v15, a15                                // 000000006788: D3D8400F 1800010F
	v_cvt_pk_bf16_f32 v16, v8, v9                              // 000000006790: D2680010 00021308
	v_cvt_pk_bf16_f32 v17, v10, v11                            // 000000006798: D2680011 0002170A
	v_cvt_pk_bf16_f32 v18, v12, v13                            // 0000000067A0: D2680012 00021B0C
	v_cvt_pk_bf16_f32 v19, v14, v15                            // 0000000067A8: D2680013 00021F0E
	s_nop 1                                                    // 0000000067B0: BF800001
	v_permlane16_swap_b32_e32 v16, v18                         // 0000000067B4: 7E20B312
	s_nop 1                                                    // 0000000067B8: BF800001
	v_permlane16_swap_b32_e32 v17, v19                         // 0000000067BC: 7E22B313
	s_nop 1                                                    // 0000000067C0: BF800001
	buffer_store_dwordx4 v[16:19], v247, s[4:7], 0 offen       // 0000000067C4: E07C1000 800110F7
	v_add_u32_e32 v247, s62, v247                              // 0000000067CC: 69EFEE3E
	v_add_u32_e32 v247, 64, v243                               // 0000000067D0: 69EFE6C0
	v_accvgpr_read_b32 v8, a16                                 // 0000000067D4: D3D84008 18000110
	v_accvgpr_read_b32 v9, a17                                 // 0000000067DC: D3D84009 18000111
	v_accvgpr_read_b32 v10, a18                                // 0000000067E4: D3D8400A 18000112
	v_accvgpr_read_b32 v11, a19                                // 0000000067EC: D3D8400B 18000113
	v_accvgpr_read_b32 v12, a24                                // 0000000067F4: D3D8400C 18000118
	v_accvgpr_read_b32 v13, a25                                // 0000000067FC: D3D8400D 18000119
	v_accvgpr_read_b32 v14, a26                                // 000000006804: D3D8400E 1800011A
	v_accvgpr_read_b32 v15, a27                                // 00000000680C: D3D8400F 1800011B
	v_cvt_pk_bf16_f32 v16, v8, v9                              // 000000006814: D2680010 00021308
	v_cvt_pk_bf16_f32 v17, v10, v11                            // 00000000681C: D2680011 0002170A
	v_cvt_pk_bf16_f32 v18, v12, v13                            // 000000006824: D2680012 00021B0C
	v_cvt_pk_bf16_f32 v19, v14, v15                            // 00000000682C: D2680013 00021F0E
	s_nop 1                                                    // 000000006834: BF800001
	v_permlane16_swap_b32_e32 v16, v18                         // 000000006838: 7E20B312
	s_nop 1                                                    // 00000000683C: BF800001
	v_permlane16_swap_b32_e32 v17, v19                         // 000000006840: 7E22B313
	s_nop 1                                                    // 000000006844: BF800001
	buffer_store_dwordx4 v[16:19], v247, s[4:7], 0 offen       // 000000006848: E07C1000 800110F7
	v_add_u32_e32 v247, s62, v247                              // 000000006850: 69EFEE3E
	v_accvgpr_read_b32 v8, a20                                 // 000000006854: D3D84008 18000114
	v_accvgpr_read_b32 v9, a21                                 // 00000000685C: D3D84009 18000115
	v_accvgpr_read_b32 v10, a22                                // 000000006864: D3D8400A 18000116
	v_accvgpr_read_b32 v11, a23                                // 00000000686C: D3D8400B 18000117
	v_accvgpr_read_b32 v12, a28                                // 000000006874: D3D8400C 1800011C
	v_accvgpr_read_b32 v13, a29                                // 00000000687C: D3D8400D 1800011D
	v_accvgpr_read_b32 v14, a30                                // 000000006884: D3D8400E 1800011E
	v_accvgpr_read_b32 v15, a31                                // 00000000688C: D3D8400F 1800011F
	v_cvt_pk_bf16_f32 v16, v8, v9                              // 000000006894: D2680010 00021308
	v_cvt_pk_bf16_f32 v17, v10, v11                            // 00000000689C: D2680011 0002170A
	v_cvt_pk_bf16_f32 v18, v12, v13                            // 0000000068A4: D2680012 00021B0C
	v_cvt_pk_bf16_f32 v19, v14, v15                            // 0000000068AC: D2680013 00021F0E
	s_nop 1                                                    // 0000000068B4: BF800001
	v_permlane16_swap_b32_e32 v16, v18                         // 0000000068B8: 7E20B312
	s_nop 1                                                    // 0000000068BC: BF800001
	v_permlane16_swap_b32_e32 v17, v19                         // 0000000068C0: 7E22B313
	s_nop 1                                                    // 0000000068C4: BF800001
	buffer_store_dwordx4 v[16:19], v247, s[4:7], 0 offen       // 0000000068C8: E07C1000 800110F7
	v_add_u32_e32 v247, s62, v247                              // 0000000068D0: 69EFEE3E
	v_add_u32_e32 v247, 0x80, v243                             // 0000000068D4: 69EFE6FF 00000080
	v_accvgpr_read_b32 v8, a32                                 // 0000000068DC: D3D84008 18000120
	v_accvgpr_read_b32 v9, a33                                 // 0000000068E4: D3D84009 18000121
	v_accvgpr_read_b32 v10, a34                                // 0000000068EC: D3D8400A 18000122
	v_accvgpr_read_b32 v11, a35                                // 0000000068F4: D3D8400B 18000123
	v_accvgpr_read_b32 v12, a40                                // 0000000068FC: D3D8400C 18000128
	v_accvgpr_read_b32 v13, a41                                // 000000006904: D3D8400D 18000129
	v_accvgpr_read_b32 v14, a42                                // 00000000690C: D3D8400E 1800012A
	v_accvgpr_read_b32 v15, a43                                // 000000006914: D3D8400F 1800012B
	v_cvt_pk_bf16_f32 v16, v8, v9                              // 00000000691C: D2680010 00021308
	v_cvt_pk_bf16_f32 v17, v10, v11                            // 000000006924: D2680011 0002170A
	v_cvt_pk_bf16_f32 v18, v12, v13                            // 00000000692C: D2680012 00021B0C
	v_cvt_pk_bf16_f32 v19, v14, v15                            // 000000006934: D2680013 00021F0E
	s_nop 1                                                    // 00000000693C: BF800001
	v_permlane16_swap_b32_e32 v16, v18                         // 000000006940: 7E20B312
	s_nop 1                                                    // 000000006944: BF800001
	v_permlane16_swap_b32_e32 v17, v19                         // 000000006948: 7E22B313
	s_nop 1                                                    // 00000000694C: BF800001
	buffer_store_dwordx4 v[16:19], v247, s[4:7], 0 offen       // 000000006950: E07C1000 800110F7
	v_add_u32_e32 v247, s62, v247                              // 000000006958: 69EFEE3E
	v_accvgpr_read_b32 v8, a36                                 // 00000000695C: D3D84008 18000124
	v_accvgpr_read_b32 v9, a37                                 // 000000006964: D3D84009 18000125
	v_accvgpr_read_b32 v10, a38                                // 00000000696C: D3D8400A 18000126
	v_accvgpr_read_b32 v11, a39                                // 000000006974: D3D8400B 18000127
	v_accvgpr_read_b32 v12, a44                                // 00000000697C: D3D8400C 1800012C
	v_accvgpr_read_b32 v13, a45                                // 000000006984: D3D8400D 1800012D
	v_accvgpr_read_b32 v14, a46                                // 00000000698C: D3D8400E 1800012E
	v_accvgpr_read_b32 v15, a47                                // 000000006994: D3D8400F 1800012F
	v_cvt_pk_bf16_f32 v16, v8, v9                              // 00000000699C: D2680010 00021308
	v_cvt_pk_bf16_f32 v17, v10, v11                            // 0000000069A4: D2680011 0002170A
	v_cvt_pk_bf16_f32 v18, v12, v13                            // 0000000069AC: D2680012 00021B0C
	v_cvt_pk_bf16_f32 v19, v14, v15                            // 0000000069B4: D2680013 00021F0E
	s_nop 1                                                    // 0000000069BC: BF800001
	v_permlane16_swap_b32_e32 v16, v18                         // 0000000069C0: 7E20B312
	s_nop 1                                                    // 0000000069C4: BF800001
	v_permlane16_swap_b32_e32 v17, v19                         // 0000000069C8: 7E22B313
	s_nop 1                                                    // 0000000069CC: BF800001
	buffer_store_dwordx4 v[16:19], v247, s[4:7], 0 offen       // 0000000069D0: E07C1000 800110F7
	v_add_u32_e32 v247, s62, v247                              // 0000000069D8: 69EFEE3E
	v_add_u32_e32 v247, 0xc0, v243                             // 0000000069DC: 69EFE6FF 000000C0
	v_accvgpr_read_b32 v8, a48                                 // 0000000069E4: D3D84008 18000130
	v_accvgpr_read_b32 v9, a49                                 // 0000000069EC: D3D84009 18000131
	v_accvgpr_read_b32 v10, a50                                // 0000000069F4: D3D8400A 18000132
	v_accvgpr_read_b32 v11, a51                                // 0000000069FC: D3D8400B 18000133
	v_accvgpr_read_b32 v12, a56                                // 000000006A04: D3D8400C 18000138
	v_accvgpr_read_b32 v13, a57                                // 000000006A0C: D3D8400D 18000139
	v_accvgpr_read_b32 v14, a58                                // 000000006A14: D3D8400E 1800013A
	v_accvgpr_read_b32 v15, a59                                // 000000006A1C: D3D8400F 1800013B
	v_cvt_pk_bf16_f32 v16, v8, v9                              // 000000006A24: D2680010 00021308
	v_cvt_pk_bf16_f32 v17, v10, v11                            // 000000006A2C: D2680011 0002170A
	v_cvt_pk_bf16_f32 v18, v12, v13                            // 000000006A34: D2680012 00021B0C
	v_cvt_pk_bf16_f32 v19, v14, v15                            // 000000006A3C: D2680013 00021F0E
	s_nop 1                                                    // 000000006A44: BF800001
	v_permlane16_swap_b32_e32 v16, v18                         // 000000006A48: 7E20B312
	s_nop 1                                                    // 000000006A4C: BF800001
	v_permlane16_swap_b32_e32 v17, v19                         // 000000006A50: 7E22B313
	s_nop 1                                                    // 000000006A54: BF800001
	buffer_store_dwordx4 v[16:19], v247, s[4:7], 0 offen       // 000000006A58: E07C1000 800110F7
	v_add_u32_e32 v247, s62, v247                              // 000000006A60: 69EFEE3E
	v_accvgpr_read_b32 v8, a52                                 // 000000006A64: D3D84008 18000134
	v_accvgpr_read_b32 v9, a53                                 // 000000006A6C: D3D84009 18000135
	v_accvgpr_read_b32 v10, a54                                // 000000006A74: D3D8400A 18000136
	v_accvgpr_read_b32 v11, a55                                // 000000006A7C: D3D8400B 18000137
	v_accvgpr_read_b32 v12, a60                                // 000000006A84: D3D8400C 1800013C
	v_accvgpr_read_b32 v13, a61                                // 000000006A8C: D3D8400D 1800013D
	v_accvgpr_read_b32 v14, a62                                // 000000006A94: D3D8400E 1800013E
	v_accvgpr_read_b32 v15, a63                                // 000000006A9C: D3D8400F 1800013F
	v_cvt_pk_bf16_f32 v16, v8, v9                              // 000000006AA4: D2680010 00021308
	v_cvt_pk_bf16_f32 v17, v10, v11                            // 000000006AAC: D2680011 0002170A
	v_cvt_pk_bf16_f32 v18, v12, v13                            // 000000006AB4: D2680012 00021B0C
	v_cvt_pk_bf16_f32 v19, v14, v15                            // 000000006ABC: D2680013 00021F0E
	s_nop 1                                                    // 000000006AC4: BF800001
	v_permlane16_swap_b32_e32 v16, v18                         // 000000006AC8: 7E20B312
	s_nop 1                                                    // 000000006ACC: BF800001
	v_permlane16_swap_b32_e32 v17, v19                         // 000000006AD0: 7E22B313
	s_nop 1                                                    // 000000006AD4: BF800001
	buffer_store_dwordx4 v[16:19], v247, s[4:7], 0 offen       // 000000006AD8: E07C1000 800110F7
	v_add_u32_e32 v247, s62, v247                              // 000000006AE0: 69EFEE3E
	v_add_u32_e32 v247, 0x100, v243                            // 000000006AE4: 69EFE6FF 00000100
	v_accvgpr_read_b32 v8, a64                                 // 000000006AEC: D3D84008 18000140
	v_accvgpr_read_b32 v9, a65                                 // 000000006AF4: D3D84009 18000141
	v_accvgpr_read_b32 v10, a66                                // 000000006AFC: D3D8400A 18000142
	v_accvgpr_read_b32 v11, a67                                // 000000006B04: D3D8400B 18000143
	v_accvgpr_read_b32 v12, a72                                // 000000006B0C: D3D8400C 18000148
	v_accvgpr_read_b32 v13, a73                                // 000000006B14: D3D8400D 18000149
	v_accvgpr_read_b32 v14, a74                                // 000000006B1C: D3D8400E 1800014A
	v_accvgpr_read_b32 v15, a75                                // 000000006B24: D3D8400F 1800014B
	v_cvt_pk_bf16_f32 v16, v8, v9                              // 000000006B2C: D2680010 00021308
	v_cvt_pk_bf16_f32 v17, v10, v11                            // 000000006B34: D2680011 0002170A
	v_cvt_pk_bf16_f32 v18, v12, v13                            // 000000006B3C: D2680012 00021B0C
	v_cvt_pk_bf16_f32 v19, v14, v15                            // 000000006B44: D2680013 00021F0E
	s_nop 1                                                    // 000000006B4C: BF800001
	v_permlane16_swap_b32_e32 v16, v18                         // 000000006B50: 7E20B312
	s_nop 1                                                    // 000000006B54: BF800001
	v_permlane16_swap_b32_e32 v17, v19                         // 000000006B58: 7E22B313
	s_nop 1                                                    // 000000006B5C: BF800001
	buffer_store_dwordx4 v[16:19], v247, s[4:7], 0 offen       // 000000006B60: E07C1000 800110F7
	v_add_u32_e32 v247, s62, v247                              // 000000006B68: 69EFEE3E
	v_accvgpr_read_b32 v8, a68                                 // 000000006B6C: D3D84008 18000144
	v_accvgpr_read_b32 v9, a69                                 // 000000006B74: D3D84009 18000145
	v_accvgpr_read_b32 v10, a70                                // 000000006B7C: D3D8400A 18000146
	v_accvgpr_read_b32 v11, a71                                // 000000006B84: D3D8400B 18000147
	v_accvgpr_read_b32 v12, a76                                // 000000006B8C: D3D8400C 1800014C
	v_accvgpr_read_b32 v13, a77                                // 000000006B94: D3D8400D 1800014D
	v_accvgpr_read_b32 v14, a78                                // 000000006B9C: D3D8400E 1800014E
	v_accvgpr_read_b32 v15, a79                                // 000000006BA4: D3D8400F 1800014F
	v_cvt_pk_bf16_f32 v16, v8, v9                              // 000000006BAC: D2680010 00021308
	v_cvt_pk_bf16_f32 v17, v10, v11                            // 000000006BB4: D2680011 0002170A
	v_cvt_pk_bf16_f32 v18, v12, v13                            // 000000006BBC: D2680012 00021B0C
	v_cvt_pk_bf16_f32 v19, v14, v15                            // 000000006BC4: D2680013 00021F0E
	s_nop 1                                                    // 000000006BCC: BF800001
	v_permlane16_swap_b32_e32 v16, v18                         // 000000006BD0: 7E20B312
	s_nop 1                                                    // 000000006BD4: BF800001
	v_permlane16_swap_b32_e32 v17, v19                         // 000000006BD8: 7E22B313
	s_nop 1                                                    // 000000006BDC: BF800001
	buffer_store_dwordx4 v[16:19], v247, s[4:7], 0 offen       // 000000006BE0: E07C1000 800110F7
	v_add_u32_e32 v247, s62, v247                              // 000000006BE8: 69EFEE3E
	v_add_u32_e32 v247, 0x140, v243                            // 000000006BEC: 69EFE6FF 00000140
	v_accvgpr_read_b32 v8, a80                                 // 000000006BF4: D3D84008 18000150
	v_accvgpr_read_b32 v9, a81                                 // 000000006BFC: D3D84009 18000151
	v_accvgpr_read_b32 v10, a82                                // 000000006C04: D3D8400A 18000152
	v_accvgpr_read_b32 v11, a83                                // 000000006C0C: D3D8400B 18000153
	v_accvgpr_read_b32 v12, a88                                // 000000006C14: D3D8400C 18000158
	v_accvgpr_read_b32 v13, a89                                // 000000006C1C: D3D8400D 18000159
	v_accvgpr_read_b32 v14, a90                                // 000000006C24: D3D8400E 1800015A
	v_accvgpr_read_b32 v15, a91                                // 000000006C2C: D3D8400F 1800015B
	v_cvt_pk_bf16_f32 v16, v8, v9                              // 000000006C34: D2680010 00021308
	v_cvt_pk_bf16_f32 v17, v10, v11                            // 000000006C3C: D2680011 0002170A
	v_cvt_pk_bf16_f32 v18, v12, v13                            // 000000006C44: D2680012 00021B0C
	v_cvt_pk_bf16_f32 v19, v14, v15                            // 000000006C4C: D2680013 00021F0E
	s_nop 1                                                    // 000000006C54: BF800001
	v_permlane16_swap_b32_e32 v16, v18                         // 000000006C58: 7E20B312
	s_nop 1                                                    // 000000006C5C: BF800001
	v_permlane16_swap_b32_e32 v17, v19                         // 000000006C60: 7E22B313
	s_nop 1                                                    // 000000006C64: BF800001
	buffer_store_dwordx4 v[16:19], v247, s[4:7], 0 offen       // 000000006C68: E07C1000 800110F7
	v_add_u32_e32 v247, s62, v247                              // 000000006C70: 69EFEE3E
	v_accvgpr_read_b32 v8, a84                                 // 000000006C74: D3D84008 18000154
	v_accvgpr_read_b32 v9, a85                                 // 000000006C7C: D3D84009 18000155
	v_accvgpr_read_b32 v10, a86                                // 000000006C84: D3D8400A 18000156
	v_accvgpr_read_b32 v11, a87                                // 000000006C8C: D3D8400B 18000157
	v_accvgpr_read_b32 v12, a92                                // 000000006C94: D3D8400C 1800015C
	v_accvgpr_read_b32 v13, a93                                // 000000006C9C: D3D8400D 1800015D
	v_accvgpr_read_b32 v14, a94                                // 000000006CA4: D3D8400E 1800015E
	v_accvgpr_read_b32 v15, a95                                // 000000006CAC: D3D8400F 1800015F
	v_cvt_pk_bf16_f32 v16, v8, v9                              // 000000006CB4: D2680010 00021308
	v_cvt_pk_bf16_f32 v17, v10, v11                            // 000000006CBC: D2680011 0002170A
	v_cvt_pk_bf16_f32 v18, v12, v13                            // 000000006CC4: D2680012 00021B0C
	v_cvt_pk_bf16_f32 v19, v14, v15                            // 000000006CCC: D2680013 00021F0E
	s_nop 1                                                    // 000000006CD4: BF800001
	v_permlane16_swap_b32_e32 v16, v18                         // 000000006CD8: 7E20B312
	s_nop 1                                                    // 000000006CDC: BF800001
	v_permlane16_swap_b32_e32 v17, v19                         // 000000006CE0: 7E22B313
	s_nop 1                                                    // 000000006CE4: BF800001
	buffer_store_dwordx4 v[16:19], v247, s[4:7], 0 offen       // 000000006CE8: E07C1000 800110F7
	v_add_u32_e32 v247, s62, v247                              // 000000006CF0: 69EFEE3E
	v_add_u32_e32 v247, 0x180, v243                            // 000000006CF4: 69EFE6FF 00000180
	v_accvgpr_read_b32 v8, a96                                 // 000000006CFC: D3D84008 18000160
	v_accvgpr_read_b32 v9, a97                                 // 000000006D04: D3D84009 18000161
	v_accvgpr_read_b32 v10, a98                                // 000000006D0C: D3D8400A 18000162
	v_accvgpr_read_b32 v11, a99                                // 000000006D14: D3D8400B 18000163
	v_accvgpr_read_b32 v12, a104                               // 000000006D1C: D3D8400C 18000168
	v_accvgpr_read_b32 v13, a105                               // 000000006D24: D3D8400D 18000169
	v_accvgpr_read_b32 v14, a106                               // 000000006D2C: D3D8400E 1800016A
	v_accvgpr_read_b32 v15, a107                               // 000000006D34: D3D8400F 1800016B
	v_cvt_pk_bf16_f32 v16, v8, v9                              // 000000006D3C: D2680010 00021308
	v_cvt_pk_bf16_f32 v17, v10, v11                            // 000000006D44: D2680011 0002170A
	v_cvt_pk_bf16_f32 v18, v12, v13                            // 000000006D4C: D2680012 00021B0C
	v_cvt_pk_bf16_f32 v19, v14, v15                            // 000000006D54: D2680013 00021F0E
	s_nop 1                                                    // 000000006D5C: BF800001
	v_permlane16_swap_b32_e32 v16, v18                         // 000000006D60: 7E20B312
	s_nop 1                                                    // 000000006D64: BF800001
	v_permlane16_swap_b32_e32 v17, v19                         // 000000006D68: 7E22B313
	s_nop 1                                                    // 000000006D6C: BF800001
	buffer_store_dwordx4 v[16:19], v247, s[4:7], 0 offen       // 000000006D70: E07C1000 800110F7
	v_add_u32_e32 v247, s62, v247                              // 000000006D78: 69EFEE3E
	v_accvgpr_read_b32 v8, a100                                // 000000006D7C: D3D84008 18000164
	v_accvgpr_read_b32 v9, a101                                // 000000006D84: D3D84009 18000165
	v_accvgpr_read_b32 v10, a102                               // 000000006D8C: D3D8400A 18000166
	v_accvgpr_read_b32 v11, a103                               // 000000006D94: D3D8400B 18000167
	v_accvgpr_read_b32 v12, a108                               // 000000006D9C: D3D8400C 1800016C
	v_accvgpr_read_b32 v13, a109                               // 000000006DA4: D3D8400D 1800016D
	v_accvgpr_read_b32 v14, a110                               // 000000006DAC: D3D8400E 1800016E
	v_accvgpr_read_b32 v15, a111                               // 000000006DB4: D3D8400F 1800016F
	v_cvt_pk_bf16_f32 v16, v8, v9                              // 000000006DBC: D2680010 00021308
	v_cvt_pk_bf16_f32 v17, v10, v11                            // 000000006DC4: D2680011 0002170A
	v_cvt_pk_bf16_f32 v18, v12, v13                            // 000000006DCC: D2680012 00021B0C
	v_cvt_pk_bf16_f32 v19, v14, v15                            // 000000006DD4: D2680013 00021F0E
	s_nop 1                                                    // 000000006DDC: BF800001
	v_permlane16_swap_b32_e32 v16, v18                         // 000000006DE0: 7E20B312
	s_nop 1                                                    // 000000006DE4: BF800001
	v_permlane16_swap_b32_e32 v17, v19                         // 000000006DE8: 7E22B313
	s_nop 1                                                    // 000000006DEC: BF800001
	buffer_store_dwordx4 v[16:19], v247, s[4:7], 0 offen       // 000000006DF0: E07C1000 800110F7
	v_add_u32_e32 v247, s62, v247                              // 000000006DF8: 69EFEE3E
	v_add_u32_e32 v247, 0x1c0, v243                            // 000000006DFC: 69EFE6FF 000001C0
	v_accvgpr_read_b32 v8, a112                                // 000000006E04: D3D84008 18000170
	v_accvgpr_read_b32 v9, a113                                // 000000006E0C: D3D84009 18000171
	v_accvgpr_read_b32 v10, a114                               // 000000006E14: D3D8400A 18000172
	v_accvgpr_read_b32 v11, a115                               // 000000006E1C: D3D8400B 18000173
	v_accvgpr_read_b32 v12, a120                               // 000000006E24: D3D8400C 18000178
	v_accvgpr_read_b32 v13, a121                               // 000000006E2C: D3D8400D 18000179
	v_accvgpr_read_b32 v14, a122                               // 000000006E34: D3D8400E 1800017A
	v_accvgpr_read_b32 v15, a123                               // 000000006E3C: D3D8400F 1800017B
	v_cvt_pk_bf16_f32 v16, v8, v9                              // 000000006E44: D2680010 00021308
	v_cvt_pk_bf16_f32 v17, v10, v11                            // 000000006E4C: D2680011 0002170A
	v_cvt_pk_bf16_f32 v18, v12, v13                            // 000000006E54: D2680012 00021B0C
	v_cvt_pk_bf16_f32 v19, v14, v15                            // 000000006E5C: D2680013 00021F0E
	s_nop 1                                                    // 000000006E64: BF800001
	v_permlane16_swap_b32_e32 v16, v18                         // 000000006E68: 7E20B312
	s_nop 1                                                    // 000000006E6C: BF800001
	v_permlane16_swap_b32_e32 v17, v19                         // 000000006E70: 7E22B313
	s_nop 1                                                    // 000000006E74: BF800001
	buffer_store_dwordx4 v[16:19], v247, s[4:7], 0 offen       // 000000006E78: E07C1000 800110F7
	v_add_u32_e32 v247, s62, v247                              // 000000006E80: 69EFEE3E
	v_accvgpr_read_b32 v8, a116                                // 000000006E84: D3D84008 18000174
	v_accvgpr_read_b32 v9, a117                                // 000000006E8C: D3D84009 18000175
	v_accvgpr_read_b32 v10, a118                               // 000000006E94: D3D8400A 18000176
	v_accvgpr_read_b32 v11, a119                               // 000000006E9C: D3D8400B 18000177
	v_accvgpr_read_b32 v12, a124                               // 000000006EA4: D3D8400C 1800017C
	v_accvgpr_read_b32 v13, a125                               // 000000006EAC: D3D8400D 1800017D
	v_accvgpr_read_b32 v14, a126                               // 000000006EB4: D3D8400E 1800017E
	v_accvgpr_read_b32 v15, a127                               // 000000006EBC: D3D8400F 1800017F
	v_cvt_pk_bf16_f32 v16, v8, v9                              // 000000006EC4: D2680010 00021308
	v_cvt_pk_bf16_f32 v17, v10, v11                            // 000000006ECC: D2680011 0002170A
	v_cvt_pk_bf16_f32 v18, v12, v13                            // 000000006ED4: D2680012 00021B0C
	v_cvt_pk_bf16_f32 v19, v14, v15                            // 000000006EDC: D2680013 00021F0E
	s_nop 1                                                    // 000000006EE4: BF800001
	v_permlane16_swap_b32_e32 v16, v18                         // 000000006EE8: 7E20B312
	s_nop 1                                                    // 000000006EEC: BF800001
	v_permlane16_swap_b32_e32 v17, v19                         // 000000006EF0: 7E22B313
	s_nop 1                                                    // 000000006EF4: BF800001
	buffer_store_dwordx4 v[16:19], v247, s[4:7], 0 offen       // 000000006EF8: E07C1000 800110F7
	v_add_u32_e32 v247, s62, v247                              // 000000006F00: 69EFEE3E
	s_branch label_12E9                                        // 000000006F04: BF820227

0000000000006f08 <label_10C2>:
	s_mul_i32 s62, s36, 16                                     // 000000006F08: 923E9024
	s_cmp_lt_i32 s60, s44                                      // 000000006F0C: BF042C3C
	s_cbranch_scc0 label_12E9                                  // 000000006F10: BF840224
	s_addk_i32 s60, 0x20                                       // 000000006F14: B73C0020
	v_add_u32_e32 v247, 0, v243                                // 000000006F18: 69EFE680
	v_accvgpr_read_b32 v8, a0                                  // 000000006F1C: D3D84008 18000100
	v_accvgpr_read_b32 v9, a1                                  // 000000006F24: D3D84009 18000101
	v_accvgpr_read_b32 v10, a2                                 // 000000006F2C: D3D8400A 18000102
	v_accvgpr_read_b32 v11, a3                                 // 000000006F34: D3D8400B 18000103
	v_accvgpr_read_b32 v12, a8                                 // 000000006F3C: D3D8400C 18000108
	v_accvgpr_read_b32 v13, a9                                 // 000000006F44: D3D8400D 18000109
	v_accvgpr_read_b32 v14, a10                                // 000000006F4C: D3D8400E 1800010A
	v_accvgpr_read_b32 v15, a11                                // 000000006F54: D3D8400F 1800010B
	v_cvt_pk_bf16_f32 v16, v8, v9                              // 000000006F5C: D2680010 00021308
	v_cvt_pk_bf16_f32 v17, v10, v11                            // 000000006F64: D2680011 0002170A
	v_cvt_pk_bf16_f32 v18, v12, v13                            // 000000006F6C: D2680012 00021B0C
	v_cvt_pk_bf16_f32 v19, v14, v15                            // 000000006F74: D2680013 00021F0E
	s_nop 1                                                    // 000000006F7C: BF800001
	v_permlane16_swap_b32_e32 v16, v18                         // 000000006F80: 7E20B312
	s_nop 1                                                    // 000000006F84: BF800001
	v_permlane16_swap_b32_e32 v17, v19                         // 000000006F88: 7E22B313
	s_nop 1                                                    // 000000006F8C: BF800001
	buffer_store_dwordx4 v[16:19], v247, s[4:7], 0 offen       // 000000006F90: E07C1000 800110F7
	v_add_u32_e32 v247, s62, v247                              // 000000006F98: 69EFEE3E
	v_accvgpr_read_b32 v8, a4                                  // 000000006F9C: D3D84008 18000104
	v_accvgpr_read_b32 v9, a5                                  // 000000006FA4: D3D84009 18000105
	v_accvgpr_read_b32 v10, a6                                 // 000000006FAC: D3D8400A 18000106
	v_accvgpr_read_b32 v11, a7                                 // 000000006FB4: D3D8400B 18000107
	v_accvgpr_read_b32 v12, a12                                // 000000006FBC: D3D8400C 1800010C
	v_accvgpr_read_b32 v13, a13                                // 000000006FC4: D3D8400D 1800010D
	v_accvgpr_read_b32 v14, a14                                // 000000006FCC: D3D8400E 1800010E
	v_accvgpr_read_b32 v15, a15                                // 000000006FD4: D3D8400F 1800010F
	v_cvt_pk_bf16_f32 v16, v8, v9                              // 000000006FDC: D2680010 00021308
	v_cvt_pk_bf16_f32 v17, v10, v11                            // 000000006FE4: D2680011 0002170A
	v_cvt_pk_bf16_f32 v18, v12, v13                            // 000000006FEC: D2680012 00021B0C
	v_cvt_pk_bf16_f32 v19, v14, v15                            // 000000006FF4: D2680013 00021F0E
	s_nop 1                                                    // 000000006FFC: BF800001
	v_permlane16_swap_b32_e32 v16, v18                         // 000000007000: 7E20B312
	s_nop 1                                                    // 000000007004: BF800001
	v_permlane16_swap_b32_e32 v17, v19                         // 000000007008: 7E22B313
	s_nop 1                                                    // 00000000700C: BF800001
	buffer_store_dwordx4 v[16:19], v247, s[4:7], 0 offen       // 000000007010: E07C1000 800110F7
	v_add_u32_e32 v247, s62, v247                              // 000000007018: 69EFEE3E
	s_cmp_lt_i32 s60, s44                                      // 00000000701C: BF042C3C
	s_cbranch_scc0 label_12E9                                  // 000000007020: BF8401E0
	s_addk_i32 s60, 0x20                                       // 000000007024: B73C0020
	v_add_u32_e32 v247, 64, v243                               // 000000007028: 69EFE6C0
	v_accvgpr_read_b32 v8, a16                                 // 00000000702C: D3D84008 18000110
	v_accvgpr_read_b32 v9, a17                                 // 000000007034: D3D84009 18000111
	v_accvgpr_read_b32 v10, a18                                // 00000000703C: D3D8400A 18000112
	v_accvgpr_read_b32 v11, a19                                // 000000007044: D3D8400B 18000113
	v_accvgpr_read_b32 v12, a24                                // 00000000704C: D3D8400C 18000118
	v_accvgpr_read_b32 v13, a25                                // 000000007054: D3D8400D 18000119
	v_accvgpr_read_b32 v14, a26                                // 00000000705C: D3D8400E 1800011A
	v_accvgpr_read_b32 v15, a27                                // 000000007064: D3D8400F 1800011B
	v_cvt_pk_bf16_f32 v16, v8, v9                              // 00000000706C: D2680010 00021308
	v_cvt_pk_bf16_f32 v17, v10, v11                            // 000000007074: D2680011 0002170A
	v_cvt_pk_bf16_f32 v18, v12, v13                            // 00000000707C: D2680012 00021B0C
	v_cvt_pk_bf16_f32 v19, v14, v15                            // 000000007084: D2680013 00021F0E
	s_nop 1                                                    // 00000000708C: BF800001
	v_permlane16_swap_b32_e32 v16, v18                         // 000000007090: 7E20B312
	s_nop 1                                                    // 000000007094: BF800001
	v_permlane16_swap_b32_e32 v17, v19                         // 000000007098: 7E22B313
	s_nop 1                                                    // 00000000709C: BF800001
	buffer_store_dwordx4 v[16:19], v247, s[4:7], 0 offen       // 0000000070A0: E07C1000 800110F7
	v_add_u32_e32 v247, s62, v247                              // 0000000070A8: 69EFEE3E
	v_accvgpr_read_b32 v8, a20                                 // 0000000070AC: D3D84008 18000114
	v_accvgpr_read_b32 v9, a21                                 // 0000000070B4: D3D84009 18000115
	v_accvgpr_read_b32 v10, a22                                // 0000000070BC: D3D8400A 18000116
	v_accvgpr_read_b32 v11, a23                                // 0000000070C4: D3D8400B 18000117
	v_accvgpr_read_b32 v12, a28                                // 0000000070CC: D3D8400C 1800011C
	v_accvgpr_read_b32 v13, a29                                // 0000000070D4: D3D8400D 1800011D
	v_accvgpr_read_b32 v14, a30                                // 0000000070DC: D3D8400E 1800011E
	v_accvgpr_read_b32 v15, a31                                // 0000000070E4: D3D8400F 1800011F
	v_cvt_pk_bf16_f32 v16, v8, v9                              // 0000000070EC: D2680010 00021308
	v_cvt_pk_bf16_f32 v17, v10, v11                            // 0000000070F4: D2680011 0002170A
	v_cvt_pk_bf16_f32 v18, v12, v13                            // 0000000070FC: D2680012 00021B0C
	v_cvt_pk_bf16_f32 v19, v14, v15                            // 000000007104: D2680013 00021F0E
	s_nop 1                                                    // 00000000710C: BF800001
	v_permlane16_swap_b32_e32 v16, v18                         // 000000007110: 7E20B312
	s_nop 1                                                    // 000000007114: BF800001
	v_permlane16_swap_b32_e32 v17, v19                         // 000000007118: 7E22B313
	s_nop 1                                                    // 00000000711C: BF800001
	buffer_store_dwordx4 v[16:19], v247, s[4:7], 0 offen       // 000000007120: E07C1000 800110F7
	v_add_u32_e32 v247, s62, v247                              // 000000007128: 69EFEE3E
	s_cmp_lt_i32 s60, s44                                      // 00000000712C: BF042C3C
	s_cbranch_scc0 label_12E9                                  // 000000007130: BF84019C
	s_addk_i32 s60, 0x20                                       // 000000007134: B73C0020
	v_add_u32_e32 v247, 0x80, v243                             // 000000007138: 69EFE6FF 00000080
	v_accvgpr_read_b32 v8, a32                                 // 000000007140: D3D84008 18000120
	v_accvgpr_read_b32 v9, a33                                 // 000000007148: D3D84009 18000121
	v_accvgpr_read_b32 v10, a34                                // 000000007150: D3D8400A 18000122
	v_accvgpr_read_b32 v11, a35                                // 000000007158: D3D8400B 18000123
	v_accvgpr_read_b32 v12, a40                                // 000000007160: D3D8400C 18000128
	v_accvgpr_read_b32 v13, a41                                // 000000007168: D3D8400D 18000129
	v_accvgpr_read_b32 v14, a42                                // 000000007170: D3D8400E 1800012A
	v_accvgpr_read_b32 v15, a43                                // 000000007178: D3D8400F 1800012B
	v_cvt_pk_bf16_f32 v16, v8, v9                              // 000000007180: D2680010 00021308
	v_cvt_pk_bf16_f32 v17, v10, v11                            // 000000007188: D2680011 0002170A
	v_cvt_pk_bf16_f32 v18, v12, v13                            // 000000007190: D2680012 00021B0C
	v_cvt_pk_bf16_f32 v19, v14, v15                            // 000000007198: D2680013 00021F0E
	s_nop 1                                                    // 0000000071A0: BF800001
	v_permlane16_swap_b32_e32 v16, v18                         // 0000000071A4: 7E20B312
	s_nop 1                                                    // 0000000071A8: BF800001
	v_permlane16_swap_b32_e32 v17, v19                         // 0000000071AC: 7E22B313
	s_nop 1                                                    // 0000000071B0: BF800001
	buffer_store_dwordx4 v[16:19], v247, s[4:7], 0 offen       // 0000000071B4: E07C1000 800110F7
	v_add_u32_e32 v247, s62, v247                              // 0000000071BC: 69EFEE3E
	v_accvgpr_read_b32 v8, a36                                 // 0000000071C0: D3D84008 18000124
	v_accvgpr_read_b32 v9, a37                                 // 0000000071C8: D3D84009 18000125
	v_accvgpr_read_b32 v10, a38                                // 0000000071D0: D3D8400A 18000126
	v_accvgpr_read_b32 v11, a39                                // 0000000071D8: D3D8400B 18000127
	v_accvgpr_read_b32 v12, a44                                // 0000000071E0: D3D8400C 1800012C
	v_accvgpr_read_b32 v13, a45                                // 0000000071E8: D3D8400D 1800012D
	v_accvgpr_read_b32 v14, a46                                // 0000000071F0: D3D8400E 1800012E
	v_accvgpr_read_b32 v15, a47                                // 0000000071F8: D3D8400F 1800012F
	v_cvt_pk_bf16_f32 v16, v8, v9                              // 000000007200: D2680010 00021308
	v_cvt_pk_bf16_f32 v17, v10, v11                            // 000000007208: D2680011 0002170A
	v_cvt_pk_bf16_f32 v18, v12, v13                            // 000000007210: D2680012 00021B0C
	v_cvt_pk_bf16_f32 v19, v14, v15                            // 000000007218: D2680013 00021F0E
	s_nop 1                                                    // 000000007220: BF800001
	v_permlane16_swap_b32_e32 v16, v18                         // 000000007224: 7E20B312
	s_nop 1                                                    // 000000007228: BF800001
	v_permlane16_swap_b32_e32 v17, v19                         // 00000000722C: 7E22B313
	s_nop 1                                                    // 000000007230: BF800001
	buffer_store_dwordx4 v[16:19], v247, s[4:7], 0 offen       // 000000007234: E07C1000 800110F7
	v_add_u32_e32 v247, s62, v247                              // 00000000723C: 69EFEE3E
	s_cmp_lt_i32 s60, s44                                      // 000000007240: BF042C3C
	s_cbranch_scc0 label_12E9                                  // 000000007244: BF840157
	s_addk_i32 s60, 0x20                                       // 000000007248: B73C0020
	v_add_u32_e32 v247, 0xc0, v243                             // 00000000724C: 69EFE6FF 000000C0
	v_accvgpr_read_b32 v8, a48                                 // 000000007254: D3D84008 18000130
	v_accvgpr_read_b32 v9, a49                                 // 00000000725C: D3D84009 18000131
	v_accvgpr_read_b32 v10, a50                                // 000000007264: D3D8400A 18000132
	v_accvgpr_read_b32 v11, a51                                // 00000000726C: D3D8400B 18000133
	v_accvgpr_read_b32 v12, a56                                // 000000007274: D3D8400C 18000138
	v_accvgpr_read_b32 v13, a57                                // 00000000727C: D3D8400D 18000139
	v_accvgpr_read_b32 v14, a58                                // 000000007284: D3D8400E 1800013A
	v_accvgpr_read_b32 v15, a59                                // 00000000728C: D3D8400F 1800013B
	v_cvt_pk_bf16_f32 v16, v8, v9                              // 000000007294: D2680010 00021308
	v_cvt_pk_bf16_f32 v17, v10, v11                            // 00000000729C: D2680011 0002170A
	v_cvt_pk_bf16_f32 v18, v12, v13                            // 0000000072A4: D2680012 00021B0C
	v_cvt_pk_bf16_f32 v19, v14, v15                            // 0000000072AC: D2680013 00021F0E
	s_nop 1                                                    // 0000000072B4: BF800001
	v_permlane16_swap_b32_e32 v16, v18                         // 0000000072B8: 7E20B312
	s_nop 1                                                    // 0000000072BC: BF800001
	v_permlane16_swap_b32_e32 v17, v19                         // 0000000072C0: 7E22B313
	s_nop 1                                                    // 0000000072C4: BF800001
	buffer_store_dwordx4 v[16:19], v247, s[4:7], 0 offen       // 0000000072C8: E07C1000 800110F7
	v_add_u32_e32 v247, s62, v247                              // 0000000072D0: 69EFEE3E
	v_accvgpr_read_b32 v8, a52                                 // 0000000072D4: D3D84008 18000134
	v_accvgpr_read_b32 v9, a53                                 // 0000000072DC: D3D84009 18000135
	v_accvgpr_read_b32 v10, a54                                // 0000000072E4: D3D8400A 18000136
	v_accvgpr_read_b32 v11, a55                                // 0000000072EC: D3D8400B 18000137
	v_accvgpr_read_b32 v12, a60                                // 0000000072F4: D3D8400C 1800013C
	v_accvgpr_read_b32 v13, a61                                // 0000000072FC: D3D8400D 1800013D
	v_accvgpr_read_b32 v14, a62                                // 000000007304: D3D8400E 1800013E
	v_accvgpr_read_b32 v15, a63                                // 00000000730C: D3D8400F 1800013F
	v_cvt_pk_bf16_f32 v16, v8, v9                              // 000000007314: D2680010 00021308
	v_cvt_pk_bf16_f32 v17, v10, v11                            // 00000000731C: D2680011 0002170A
	v_cvt_pk_bf16_f32 v18, v12, v13                            // 000000007324: D2680012 00021B0C
	v_cvt_pk_bf16_f32 v19, v14, v15                            // 00000000732C: D2680013 00021F0E
	s_nop 1                                                    // 000000007334: BF800001
	v_permlane16_swap_b32_e32 v16, v18                         // 000000007338: 7E20B312
	s_nop 1                                                    // 00000000733C: BF800001
	v_permlane16_swap_b32_e32 v17, v19                         // 000000007340: 7E22B313
	s_nop 1                                                    // 000000007344: BF800001
	buffer_store_dwordx4 v[16:19], v247, s[4:7], 0 offen       // 000000007348: E07C1000 800110F7
	v_add_u32_e32 v247, s62, v247                              // 000000007350: 69EFEE3E
	s_cmp_lt_i32 s60, s44                                      // 000000007354: BF042C3C
	s_cbranch_scc0 label_12E9                                  // 000000007358: BF840112
	s_addk_i32 s60, 0x20                                       // 00000000735C: B73C0020
	v_add_u32_e32 v247, 0x100, v243                            // 000000007360: 69EFE6FF 00000100
	v_accvgpr_read_b32 v8, a64                                 // 000000007368: D3D84008 18000140
	v_accvgpr_read_b32 v9, a65                                 // 000000007370: D3D84009 18000141
	v_accvgpr_read_b32 v10, a66                                // 000000007378: D3D8400A 18000142
	v_accvgpr_read_b32 v11, a67                                // 000000007380: D3D8400B 18000143
	v_accvgpr_read_b32 v12, a72                                // 000000007388: D3D8400C 18000148
	v_accvgpr_read_b32 v13, a73                                // 000000007390: D3D8400D 18000149
	v_accvgpr_read_b32 v14, a74                                // 000000007398: D3D8400E 1800014A
	v_accvgpr_read_b32 v15, a75                                // 0000000073A0: D3D8400F 1800014B
	v_cvt_pk_bf16_f32 v16, v8, v9                              // 0000000073A8: D2680010 00021308
	v_cvt_pk_bf16_f32 v17, v10, v11                            // 0000000073B0: D2680011 0002170A
	v_cvt_pk_bf16_f32 v18, v12, v13                            // 0000000073B8: D2680012 00021B0C
	v_cvt_pk_bf16_f32 v19, v14, v15                            // 0000000073C0: D2680013 00021F0E
	s_nop 1                                                    // 0000000073C8: BF800001
	v_permlane16_swap_b32_e32 v16, v18                         // 0000000073CC: 7E20B312
	s_nop 1                                                    // 0000000073D0: BF800001
	v_permlane16_swap_b32_e32 v17, v19                         // 0000000073D4: 7E22B313
	s_nop 1                                                    // 0000000073D8: BF800001
	buffer_store_dwordx4 v[16:19], v247, s[4:7], 0 offen       // 0000000073DC: E07C1000 800110F7
	v_add_u32_e32 v247, s62, v247                              // 0000000073E4: 69EFEE3E
	v_accvgpr_read_b32 v8, a68                                 // 0000000073E8: D3D84008 18000144
	v_accvgpr_read_b32 v9, a69                                 // 0000000073F0: D3D84009 18000145
	v_accvgpr_read_b32 v10, a70                                // 0000000073F8: D3D8400A 18000146
	v_accvgpr_read_b32 v11, a71                                // 000000007400: D3D8400B 18000147
	v_accvgpr_read_b32 v12, a76                                // 000000007408: D3D8400C 1800014C
	v_accvgpr_read_b32 v13, a77                                // 000000007410: D3D8400D 1800014D
	v_accvgpr_read_b32 v14, a78                                // 000000007418: D3D8400E 1800014E
	v_accvgpr_read_b32 v15, a79                                // 000000007420: D3D8400F 1800014F
	v_cvt_pk_bf16_f32 v16, v8, v9                              // 000000007428: D2680010 00021308
	v_cvt_pk_bf16_f32 v17, v10, v11                            // 000000007430: D2680011 0002170A
	v_cvt_pk_bf16_f32 v18, v12, v13                            // 000000007438: D2680012 00021B0C
	v_cvt_pk_bf16_f32 v19, v14, v15                            // 000000007440: D2680013 00021F0E
	s_nop 1                                                    // 000000007448: BF800001
	v_permlane16_swap_b32_e32 v16, v18                         // 00000000744C: 7E20B312
	s_nop 1                                                    // 000000007450: BF800001
	v_permlane16_swap_b32_e32 v17, v19                         // 000000007454: 7E22B313
	s_nop 1                                                    // 000000007458: BF800001
	buffer_store_dwordx4 v[16:19], v247, s[4:7], 0 offen       // 00000000745C: E07C1000 800110F7
	v_add_u32_e32 v247, s62, v247                              // 000000007464: 69EFEE3E
	s_cmp_lt_i32 s60, s44                                      // 000000007468: BF042C3C
	s_cbranch_scc0 label_12E9                                  // 00000000746C: BF8400CD
	s_addk_i32 s60, 0x20                                       // 000000007470: B73C0020
	v_add_u32_e32 v247, 0x140, v243                            // 000000007474: 69EFE6FF 00000140
	v_accvgpr_read_b32 v8, a80                                 // 00000000747C: D3D84008 18000150
	v_accvgpr_read_b32 v9, a81                                 // 000000007484: D3D84009 18000151
	v_accvgpr_read_b32 v10, a82                                // 00000000748C: D3D8400A 18000152
	v_accvgpr_read_b32 v11, a83                                // 000000007494: D3D8400B 18000153
	v_accvgpr_read_b32 v12, a88                                // 00000000749C: D3D8400C 18000158
	v_accvgpr_read_b32 v13, a89                                // 0000000074A4: D3D8400D 18000159
	v_accvgpr_read_b32 v14, a90                                // 0000000074AC: D3D8400E 1800015A
	v_accvgpr_read_b32 v15, a91                                // 0000000074B4: D3D8400F 1800015B
	v_cvt_pk_bf16_f32 v16, v8, v9                              // 0000000074BC: D2680010 00021308
	v_cvt_pk_bf16_f32 v17, v10, v11                            // 0000000074C4: D2680011 0002170A
	v_cvt_pk_bf16_f32 v18, v12, v13                            // 0000000074CC: D2680012 00021B0C
	v_cvt_pk_bf16_f32 v19, v14, v15                            // 0000000074D4: D2680013 00021F0E
	s_nop 1                                                    // 0000000074DC: BF800001
	v_permlane16_swap_b32_e32 v16, v18                         // 0000000074E0: 7E20B312
	s_nop 1                                                    // 0000000074E4: BF800001
	v_permlane16_swap_b32_e32 v17, v19                         // 0000000074E8: 7E22B313
	s_nop 1                                                    // 0000000074EC: BF800001
	buffer_store_dwordx4 v[16:19], v247, s[4:7], 0 offen       // 0000000074F0: E07C1000 800110F7
	v_add_u32_e32 v247, s62, v247                              // 0000000074F8: 69EFEE3E
	v_accvgpr_read_b32 v8, a84                                 // 0000000074FC: D3D84008 18000154
	v_accvgpr_read_b32 v9, a85                                 // 000000007504: D3D84009 18000155
	v_accvgpr_read_b32 v10, a86                                // 00000000750C: D3D8400A 18000156
	v_accvgpr_read_b32 v11, a87                                // 000000007514: D3D8400B 18000157
	v_accvgpr_read_b32 v12, a92                                // 00000000751C: D3D8400C 1800015C
	v_accvgpr_read_b32 v13, a93                                // 000000007524: D3D8400D 1800015D
	v_accvgpr_read_b32 v14, a94                                // 00000000752C: D3D8400E 1800015E
	v_accvgpr_read_b32 v15, a95                                // 000000007534: D3D8400F 1800015F
	v_cvt_pk_bf16_f32 v16, v8, v9                              // 00000000753C: D2680010 00021308
	v_cvt_pk_bf16_f32 v17, v10, v11                            // 000000007544: D2680011 0002170A
	v_cvt_pk_bf16_f32 v18, v12, v13                            // 00000000754C: D2680012 00021B0C
	v_cvt_pk_bf16_f32 v19, v14, v15                            // 000000007554: D2680013 00021F0E
	s_nop 1                                                    // 00000000755C: BF800001
	v_permlane16_swap_b32_e32 v16, v18                         // 000000007560: 7E20B312
	s_nop 1                                                    // 000000007564: BF800001
	v_permlane16_swap_b32_e32 v17, v19                         // 000000007568: 7E22B313
	s_nop 1                                                    // 00000000756C: BF800001
	buffer_store_dwordx4 v[16:19], v247, s[4:7], 0 offen       // 000000007570: E07C1000 800110F7
	v_add_u32_e32 v247, s62, v247                              // 000000007578: 69EFEE3E
	s_cmp_lt_i32 s60, s44                                      // 00000000757C: BF042C3C
	s_cbranch_scc0 label_12E9                                  // 000000007580: BF840088
	s_addk_i32 s60, 0x20                                       // 000000007584: B73C0020
	v_add_u32_e32 v247, 0x180, v243                            // 000000007588: 69EFE6FF 00000180
	v_accvgpr_read_b32 v8, a96                                 // 000000007590: D3D84008 18000160
	v_accvgpr_read_b32 v9, a97                                 // 000000007598: D3D84009 18000161
	v_accvgpr_read_b32 v10, a98                                // 0000000075A0: D3D8400A 18000162
	v_accvgpr_read_b32 v11, a99                                // 0000000075A8: D3D8400B 18000163
	v_accvgpr_read_b32 v12, a104                               // 0000000075B0: D3D8400C 18000168
	v_accvgpr_read_b32 v13, a105                               // 0000000075B8: D3D8400D 18000169
	v_accvgpr_read_b32 v14, a106                               // 0000000075C0: D3D8400E 1800016A
	v_accvgpr_read_b32 v15, a107                               // 0000000075C8: D3D8400F 1800016B
	v_cvt_pk_bf16_f32 v16, v8, v9                              // 0000000075D0: D2680010 00021308
	v_cvt_pk_bf16_f32 v17, v10, v11                            // 0000000075D8: D2680011 0002170A
	v_cvt_pk_bf16_f32 v18, v12, v13                            // 0000000075E0: D2680012 00021B0C
	v_cvt_pk_bf16_f32 v19, v14, v15                            // 0000000075E8: D2680013 00021F0E
	s_nop 1                                                    // 0000000075F0: BF800001
	v_permlane16_swap_b32_e32 v16, v18                         // 0000000075F4: 7E20B312
	s_nop 1                                                    // 0000000075F8: BF800001
	v_permlane16_swap_b32_e32 v17, v19                         // 0000000075FC: 7E22B313
	s_nop 1                                                    // 000000007600: BF800001
	buffer_store_dwordx4 v[16:19], v247, s[4:7], 0 offen       // 000000007604: E07C1000 800110F7
	v_add_u32_e32 v247, s62, v247                              // 00000000760C: 69EFEE3E
	v_accvgpr_read_b32 v8, a100                                // 000000007610: D3D84008 18000164
	v_accvgpr_read_b32 v9, a101                                // 000000007618: D3D84009 18000165
	v_accvgpr_read_b32 v10, a102                               // 000000007620: D3D8400A 18000166
	v_accvgpr_read_b32 v11, a103                               // 000000007628: D3D8400B 18000167
	v_accvgpr_read_b32 v12, a108                               // 000000007630: D3D8400C 1800016C
	v_accvgpr_read_b32 v13, a109                               // 000000007638: D3D8400D 1800016D
	v_accvgpr_read_b32 v14, a110                               // 000000007640: D3D8400E 1800016E
	v_accvgpr_read_b32 v15, a111                               // 000000007648: D3D8400F 1800016F
	v_cvt_pk_bf16_f32 v16, v8, v9                              // 000000007650: D2680010 00021308
	v_cvt_pk_bf16_f32 v17, v10, v11                            // 000000007658: D2680011 0002170A
	v_cvt_pk_bf16_f32 v18, v12, v13                            // 000000007660: D2680012 00021B0C
	v_cvt_pk_bf16_f32 v19, v14, v15                            // 000000007668: D2680013 00021F0E
	s_nop 1                                                    // 000000007670: BF800001
	v_permlane16_swap_b32_e32 v16, v18                         // 000000007674: 7E20B312
	s_nop 1                                                    // 000000007678: BF800001
	v_permlane16_swap_b32_e32 v17, v19                         // 00000000767C: 7E22B313
	s_nop 1                                                    // 000000007680: BF800001
	buffer_store_dwordx4 v[16:19], v247, s[4:7], 0 offen       // 000000007684: E07C1000 800110F7
	v_add_u32_e32 v247, s62, v247                              // 00000000768C: 69EFEE3E
	s_cmp_lt_i32 s60, s44                                      // 000000007690: BF042C3C
	s_cbranch_scc0 label_12E9                                  // 000000007694: BF840043
	s_addk_i32 s60, 0x20                                       // 000000007698: B73C0020
	v_add_u32_e32 v247, 0x1c0, v243                            // 00000000769C: 69EFE6FF 000001C0
	v_accvgpr_read_b32 v8, a112                                // 0000000076A4: D3D84008 18000170
	v_accvgpr_read_b32 v9, a113                                // 0000000076AC: D3D84009 18000171
	v_accvgpr_read_b32 v10, a114                               // 0000000076B4: D3D8400A 18000172
	v_accvgpr_read_b32 v11, a115                               // 0000000076BC: D3D8400B 18000173
	v_accvgpr_read_b32 v12, a120                               // 0000000076C4: D3D8400C 18000178
	v_accvgpr_read_b32 v13, a121                               // 0000000076CC: D3D8400D 18000179
	v_accvgpr_read_b32 v14, a122                               // 0000000076D4: D3D8400E 1800017A
	v_accvgpr_read_b32 v15, a123                               // 0000000076DC: D3D8400F 1800017B
	v_cvt_pk_bf16_f32 v16, v8, v9                              // 0000000076E4: D2680010 00021308
	v_cvt_pk_bf16_f32 v17, v10, v11                            // 0000000076EC: D2680011 0002170A
	v_cvt_pk_bf16_f32 v18, v12, v13                            // 0000000076F4: D2680012 00021B0C
	v_cvt_pk_bf16_f32 v19, v14, v15                            // 0000000076FC: D2680013 00021F0E
	s_nop 1                                                    // 000000007704: BF800001
	v_permlane16_swap_b32_e32 v16, v18                         // 000000007708: 7E20B312
	s_nop 1                                                    // 00000000770C: BF800001
	v_permlane16_swap_b32_e32 v17, v19                         // 000000007710: 7E22B313
	s_nop 1                                                    // 000000007714: BF800001
	buffer_store_dwordx4 v[16:19], v247, s[4:7], 0 offen       // 000000007718: E07C1000 800110F7
	v_add_u32_e32 v247, s62, v247                              // 000000007720: 69EFEE3E
	v_accvgpr_read_b32 v8, a116                                // 000000007724: D3D84008 18000174
	v_accvgpr_read_b32 v9, a117                                // 00000000772C: D3D84009 18000175
	v_accvgpr_read_b32 v10, a118                               // 000000007734: D3D8400A 18000176
	v_accvgpr_read_b32 v11, a119                               // 00000000773C: D3D8400B 18000177
	v_accvgpr_read_b32 v12, a124                               // 000000007744: D3D8400C 1800017C
	v_accvgpr_read_b32 v13, a125                               // 00000000774C: D3D8400D 1800017D
	v_accvgpr_read_b32 v14, a126                               // 000000007754: D3D8400E 1800017E
	v_accvgpr_read_b32 v15, a127                               // 00000000775C: D3D8400F 1800017F
	v_cvt_pk_bf16_f32 v16, v8, v9                              // 000000007764: D2680010 00021308
	v_cvt_pk_bf16_f32 v17, v10, v11                            // 00000000776C: D2680011 0002170A
	v_cvt_pk_bf16_f32 v18, v12, v13                            // 000000007774: D2680012 00021B0C
	v_cvt_pk_bf16_f32 v19, v14, v15                            // 00000000777C: D2680013 00021F0E
	s_nop 1                                                    // 000000007784: BF800001
	v_permlane16_swap_b32_e32 v16, v18                         // 000000007788: 7E20B312
	s_nop 1                                                    // 00000000778C: BF800001
	v_permlane16_swap_b32_e32 v17, v19                         // 000000007790: 7E22B313
	s_nop 1                                                    // 000000007794: BF800001
	buffer_store_dwordx4 v[16:19], v247, s[4:7], 0 offen       // 000000007798: E07C1000 800110F7
	v_add_u32_e32 v247, s62, v247                              // 0000000077A0: 69EFEE3E

00000000000077a4 <label_12E9>:
	s_waitcnt vmcnt(0) expcnt(0) lgkmcnt(0)                    // 0000000077A4: BF8C0000
	s_endpgm                                                   // 0000000077A8: BF810000
